;; amdgpu-corpus repo=zjin-lcf/HeCBench kind=compiled arch=gfx1100 opt=O3
	.text
	.amdgcn_target "amdgcn-amd-amdhsa--gfx1100"
	.amdhsa_code_object_version 6
	.protected	_Z17kernel_find_indexPKfS0_S0_S0_PfS1_i ; -- Begin function _Z17kernel_find_indexPKfS0_S0_S0_PfS1_i
	.globl	_Z17kernel_find_indexPKfS0_S0_S0_PfS1_i
	.p2align	8
	.type	_Z17kernel_find_indexPKfS0_S0_S0_PfS1_i,@function
_Z17kernel_find_indexPKfS0_S0_S0_PfS1_i: ; @_Z17kernel_find_indexPKfS0_S0_S0_PfS1_i
; %bb.0:
	s_clause 0x1
	s_load_b32 s2, s[0:1], 0x44
	s_load_b32 s12, s[0:1], 0x30
	s_waitcnt lgkmcnt(0)
	s_and_b32 s2, s2, 0xffff
	s_delay_alu instid0(SALU_CYCLE_1) | instskip(SKIP_1) | instid1(VALU_DEP_1)
	v_mad_u64_u32 v[1:2], null, s15, s2, v[0:1]
	s_mov_b32 s2, exec_lo
	v_cmpx_gt_i32_e64 s12, v1
	s_cbranch_execz .LBB0_9
; %bb.1:
	s_clause 0x1
	s_load_b128 s[8:11], s[0:1], 0x0
	s_load_b128 s[4:7], s[0:1], 0x20
	v_ashrrev_i32_e32 v2, 31, v1
	s_cmp_lt_i32 s12, 1
	s_delay_alu instid0(VALU_DEP_1)
	v_lshlrev_b64 v[0:1], 2, v[1:2]
	s_cbranch_scc1 .LBB0_7
; %bb.2:
	s_load_b128 s[0:3], s[0:1], 0x10
                                        ; implicit-def: $sgpr13
	s_waitcnt lgkmcnt(0)
	s_delay_alu instid0(VALU_DEP_1) | instskip(NEXT) | instid1(VALU_DEP_2)
	v_add_co_u32 v2, vcc_lo, s2, v0
	v_add_co_ci_u32_e32 v3, vcc_lo, s3, v1, vcc_lo
	s_mov_b32 s2, 0
	s_mov_b32 s3, 0
	global_load_b32 v2, v[2:3], off
	s_branch .LBB0_4
	.p2align	6
.LBB0_3:                                ;   in Loop: Header=BB0_4 Depth=1
	s_or_b32 exec_lo, exec_lo, s14
	s_delay_alu instid0(SALU_CYCLE_1) | instskip(NEXT) | instid1(SALU_CYCLE_1)
	s_and_b32 s14, exec_lo, s13
	s_or_b32 s2, s14, s2
	s_delay_alu instid0(SALU_CYCLE_1)
	s_and_not1_b32 exec_lo, exec_lo, s2
	s_cbranch_execz .LBB0_6
.LBB0_4:                                ; =>This Inner Loop Header: Depth=1
	s_load_b32 s14, s[0:1], 0x0
	v_mov_b32_e32 v3, s3
	s_or_b32 s13, s13, exec_lo
	s_waitcnt vmcnt(0) lgkmcnt(0)
	v_cmp_nge_f32_e32 vcc_lo, s14, v2
	s_and_saveexec_b32 s14, vcc_lo
	s_cbranch_execz .LBB0_3
; %bb.5:                                ;   in Loop: Header=BB0_4 Depth=1
	s_add_i32 s3, s3, 1
	s_add_u32 s0, s0, 4
	s_addc_u32 s1, s1, 0
	s_cmp_eq_u32 s12, s3
	v_mov_b32_e32 v3, -1
	s_cselect_b32 s15, -1, 0
	s_and_not1_b32 s13, s13, exec_lo
	s_and_b32 s15, s15, exec_lo
	s_delay_alu instid0(SALU_CYCLE_1)
	s_or_b32 s13, s13, s15
	s_branch .LBB0_3
.LBB0_6:
	s_or_b32 exec_lo, exec_lo, s2
	s_branch .LBB0_8
.LBB0_7:
	v_mov_b32_e32 v3, -1
.LBB0_8:
	s_delay_alu instid0(VALU_DEP_1) | instskip(SKIP_1) | instid1(SALU_CYCLE_1)
	v_cmp_eq_u32_e32 vcc_lo, -1, v3
	s_add_i32 s12, s12, -1
	v_cndmask_b32_e64 v2, v3, s12, vcc_lo
	s_delay_alu instid0(VALU_DEP_1) | instskip(NEXT) | instid1(VALU_DEP_1)
	v_ashrrev_i32_e32 v3, 31, v2
	v_lshlrev_b64 v[2:3], 2, v[2:3]
	s_waitcnt lgkmcnt(0)
	s_delay_alu instid0(VALU_DEP_1) | instskip(NEXT) | instid1(VALU_DEP_2)
	v_add_co_u32 v4, vcc_lo, s8, v2
	v_add_co_ci_u32_e32 v5, vcc_lo, s9, v3, vcc_lo
	v_add_co_u32 v2, vcc_lo, s10, v2
	v_add_co_ci_u32_e32 v3, vcc_lo, s11, v3, vcc_lo
	global_load_b32 v4, v[4:5], off
	global_load_b32 v5, v[2:3], off
	v_add_co_u32 v2, vcc_lo, s4, v0
	v_add_co_ci_u32_e32 v3, vcc_lo, s5, v1, vcc_lo
	v_add_co_u32 v0, vcc_lo, s6, v0
	v_add_co_ci_u32_e32 v1, vcc_lo, s7, v1, vcc_lo
	s_waitcnt vmcnt(1)
	global_store_b32 v[2:3], v4, off
	s_waitcnt vmcnt(0)
	global_store_b32 v[0:1], v5, off
.LBB0_9:
	s_nop 0
	s_sendmsg sendmsg(MSG_DEALLOC_VGPRS)
	s_endpgm
	.section	.rodata,"a",@progbits
	.p2align	6, 0x0
	.amdhsa_kernel _Z17kernel_find_indexPKfS0_S0_S0_PfS1_i
		.amdhsa_group_segment_fixed_size 0
		.amdhsa_private_segment_fixed_size 0
		.amdhsa_kernarg_size 312
		.amdhsa_user_sgpr_count 15
		.amdhsa_user_sgpr_dispatch_ptr 0
		.amdhsa_user_sgpr_queue_ptr 0
		.amdhsa_user_sgpr_kernarg_segment_ptr 1
		.amdhsa_user_sgpr_dispatch_id 0
		.amdhsa_user_sgpr_private_segment_size 0
		.amdhsa_wavefront_size32 1
		.amdhsa_uses_dynamic_stack 0
		.amdhsa_enable_private_segment 0
		.amdhsa_system_sgpr_workgroup_id_x 1
		.amdhsa_system_sgpr_workgroup_id_y 0
		.amdhsa_system_sgpr_workgroup_id_z 0
		.amdhsa_system_sgpr_workgroup_info 0
		.amdhsa_system_vgpr_workitem_id 0
		.amdhsa_next_free_vgpr 6
		.amdhsa_next_free_sgpr 16
		.amdhsa_reserve_vcc 1
		.amdhsa_float_round_mode_32 0
		.amdhsa_float_round_mode_16_64 0
		.amdhsa_float_denorm_mode_32 3
		.amdhsa_float_denorm_mode_16_64 3
		.amdhsa_dx10_clamp 1
		.amdhsa_ieee_mode 1
		.amdhsa_fp16_overflow 0
		.amdhsa_workgroup_processor_mode 1
		.amdhsa_memory_ordered 1
		.amdhsa_forward_progress 0
		.amdhsa_shared_vgpr_count 0
		.amdhsa_exception_fp_ieee_invalid_op 0
		.amdhsa_exception_fp_denorm_src 0
		.amdhsa_exception_fp_ieee_div_zero 0
		.amdhsa_exception_fp_ieee_overflow 0
		.amdhsa_exception_fp_ieee_underflow 0
		.amdhsa_exception_fp_ieee_inexact 0
		.amdhsa_exception_int_div_zero 0
	.end_amdhsa_kernel
	.text
.Lfunc_end0:
	.size	_Z17kernel_find_indexPKfS0_S0_S0_PfS1_i, .Lfunc_end0-_Z17kernel_find_indexPKfS0_S0_S0_PfS1_i
                                        ; -- End function
	.section	.AMDGPU.csdata,"",@progbits
; Kernel info:
; codeLenInByte = 412
; NumSgprs: 18
; NumVgprs: 6
; ScratchSize: 0
; MemoryBound: 0
; FloatMode: 240
; IeeeMode: 1
; LDSByteSize: 0 bytes/workgroup (compile time only)
; SGPRBlocks: 2
; VGPRBlocks: 0
; NumSGPRsForWavesPerEU: 18
; NumVGPRsForWavesPerEU: 6
; Occupancy: 16
; WaveLimiterHint : 0
; COMPUTE_PGM_RSRC2:SCRATCH_EN: 0
; COMPUTE_PGM_RSRC2:USER_SGPR: 15
; COMPUTE_PGM_RSRC2:TRAP_HANDLER: 0
; COMPUTE_PGM_RSRC2:TGID_X_EN: 1
; COMPUTE_PGM_RSRC2:TGID_Y_EN: 0
; COMPUTE_PGM_RSRC2:TGID_Z_EN: 0
; COMPUTE_PGM_RSRC2:TIDIG_COMP_CNT: 0
	.text
	.protected	_Z17kernel_likelihoodPfS_PKfS1_PiPKiS_PKhS_S2_S_iiiiii ; -- Begin function _Z17kernel_likelihoodPfS_PKfS1_PiPKiS_PKhS_S2_S_iiiiii
	.globl	_Z17kernel_likelihoodPfS_PKfS1_PiPKiS_PKhS_S2_S_iiiiii
	.p2align	8
	.type	_Z17kernel_likelihoodPfS_PKfS1_PiPKiS_PKhS_S2_S_iiiiii,@function
_Z17kernel_likelihoodPfS_PKfS1_PiPKiS_PKhS_S2_S_iiiiii: ; @_Z17kernel_likelihoodPfS_PKfS1_PiPKiS_PKhS_S2_S_iiiiii
; %bb.0:
	s_mov_b32 s20, s15
	s_clause 0x6
	s_load_b32 s2, s[0:1], 0x7c
	s_load_b128 s[12:15], s[0:1], 0x58
	s_load_b64 s[26:27], s[0:1], 0x68
	s_load_b64 s[22:23], s[0:1], 0x50
	;; [unrolled: 1-line block ×3, first 2 shown]
	s_load_b128 s[16:19], s[0:1], 0x0
	s_load_b256 s[4:11], s[0:1], 0x20
	s_waitcnt lgkmcnt(0)
	s_and_b32 s2, s2, 0xffff
	s_delay_alu instid0(SALU_CYCLE_1) | instskip(NEXT) | instid1(VALU_DEP_1)
	v_mad_u64_u32 v[1:2], null, s20, s2, v[0:1]
	v_cmp_gt_i32_e64 s2, s12, v1
	v_ashrrev_i32_e32 v2, 31, v1
	s_delay_alu instid0(VALU_DEP_2)
	s_and_saveexec_b32 s21, s2
	s_cbranch_execz .LBB1_10
; %bb.1:
	s_clause 0x1
	s_load_b64 s[34:35], s[0:1], 0x48
	s_load_b128 s[28:31], s[0:1], 0x10
	v_lshlrev_b64 v[3:4], 2, v[1:2]
	v_cvt_f32_i32_e32 v12, s12
	s_mov_b32 s0, 0x41c64e6d
	s_delay_alu instid0(VALU_DEP_1) | instskip(NEXT) | instid1(VALU_DEP_1)
	v_div_scale_f32 v13, null, v12, v12, 1.0
	v_rcp_f32_e32 v14, v13
	s_waitcnt lgkmcnt(0)
	v_add_co_u32 v5, vcc_lo, s34, v3
	v_add_co_ci_u32_e32 v6, vcc_lo, s35, v4, vcc_lo
	v_add_co_u32 v7, vcc_lo, s28, v3
	v_add_co_ci_u32_e32 v8, vcc_lo, s29, v4, vcc_lo
	global_load_b32 v11, v[5:6], off
	v_add_co_u32 v9, vcc_lo, s30, v3
	v_add_co_ci_u32_e32 v10, vcc_lo, s31, v4, vcc_lo
	global_load_b32 v8, v[7:8], off
	global_load_b32 v7, v[9:10], off
	v_fma_f32 v15, -v13, v14, 1.0
	v_div_scale_f32 v16, vcc_lo, 1.0, v12, 1.0
	s_delay_alu instid0(VALU_DEP_2) | instskip(SKIP_2) | instid1(VALU_DEP_1)
	v_fmac_f32_e32 v14, v15, v14
	s_waitcnt vmcnt(2)
	v_mad_u64_u32 v[9:10], null, v11, s0, 0x3039
	v_mul_hi_i32 v10, 0x40000001, v9
	s_delay_alu instid0(VALU_DEP_1) | instskip(SKIP_1) | instid1(VALU_DEP_1)
	v_lshrrev_b32_e32 v11, 31, v10
	v_ashrrev_i32_e32 v10, 29, v10
	v_add_nc_u32_e32 v10, v10, v11
	s_delay_alu instid0(VALU_DEP_1) | instskip(NEXT) | instid1(VALU_DEP_1)
	v_mul_lo_u32 v10, 0x7fffffff, v10
	v_sub_nc_u32_e32 v11, v9, v10
	s_delay_alu instid0(VALU_DEP_1) | instskip(SKIP_1) | instid1(VALU_DEP_1)
	v_mad_u64_u32 v[9:10], null, v11, s0, 0x3039
	s_mov_b32 s0, exec_lo
	v_mul_hi_i32 v10, 0x40000001, v9
	s_delay_alu instid0(VALU_DEP_1) | instskip(SKIP_1) | instid1(VALU_DEP_1)
	v_lshrrev_b32_e32 v15, 31, v10
	v_ashrrev_i32_e32 v10, 29, v10
	v_dual_mul_f32 v15, v16, v14 :: v_dual_add_nc_u32 v10, v10, v15
	s_delay_alu instid0(VALU_DEP_1) | instskip(NEXT) | instid1(VALU_DEP_1)
	v_fma_f32 v17, -v13, v15, v16
	v_fmac_f32_e32 v15, v17, v14
	s_delay_alu instid0(VALU_DEP_3) | instskip(NEXT) | instid1(VALU_DEP_1)
	v_mul_lo_u32 v10, 0x7fffffff, v10
	v_sub_nc_u32_e32 v10, v9, v10
	s_delay_alu instid0(VALU_DEP_3) | instskip(NEXT) | instid1(VALU_DEP_2)
	v_fma_f32 v9, -v13, v15, v16
	v_cvt_f32_i32_e32 v13, v10
	s_delay_alu instid0(VALU_DEP_1) | instskip(NEXT) | instid1(VALU_DEP_3)
	v_mul_f32_e32 v13, 0x30000000, v13
	v_div_fmas_f32 v9, v9, v14, v15
	s_delay_alu instid0(VALU_DEP_1) | instskip(SKIP_1) | instid1(VALU_DEP_4)
	v_div_fixup_f32 v14, v9, v12, 1.0
	v_add_co_u32 v12, vcc_lo, s24, v3
	v_mul_f32_e64 v9, 0x40c90fdb, |v13|
	v_add_co_ci_u32_e32 v13, vcc_lo, s25, v4, vcc_lo
	global_store_b32 v[12:13], v14, off
                                        ; implicit-def: $vgpr13
                                        ; implicit-def: $vgpr12
	v_cmpx_ngt_f32_e32 0x48000000, v9
	s_xor_b32 s12, exec_lo, s0
	s_cbranch_execz .LBB1_3
; %bb.2:
	s_mov_b32 s0, 0x7fffff
	v_mov_b32_e32 v14, 0
	v_and_or_b32 v22, v9, s0, 0x800000
	v_lshrrev_b32_e32 v19, 23, v9
	s_delay_alu instid0(VALU_DEP_2) | instskip(NEXT) | instid1(VALU_DEP_2)
	v_mad_u64_u32 v[12:13], null, 0xfe5163ab, v22, 0
	v_add_nc_u32_e32 v20, 0xffffff88, v19
	s_delay_alu instid0(VALU_DEP_1) | instskip(NEXT) | instid1(VALU_DEP_3)
	v_cmp_lt_u32_e32 vcc_lo, 63, v20
	v_mad_u64_u32 v[15:16], null, 0x3c439041, v22, v[13:14]
	v_cndmask_b32_e64 v21, 0, 0xffffffc0, vcc_lo
	s_delay_alu instid0(VALU_DEP_2) | instskip(NEXT) | instid1(VALU_DEP_2)
	v_mov_b32_e32 v13, v16
	v_add_nc_u32_e32 v21, v21, v20
	s_delay_alu instid0(VALU_DEP_2) | instskip(NEXT) | instid1(VALU_DEP_2)
	v_mad_u64_u32 v[16:17], null, 0xdb629599, v22, v[13:14]
	v_cmp_lt_u32_e64 s0, 31, v21
	s_delay_alu instid0(VALU_DEP_1) | instskip(NEXT) | instid1(VALU_DEP_3)
	v_cndmask_b32_e64 v23, 0, 0xffffffe0, s0
	v_dual_mov_b32 v13, v17 :: v_dual_cndmask_b32 v12, v16, v12
	s_delay_alu instid0(VALU_DEP_2) | instskip(NEXT) | instid1(VALU_DEP_2)
	v_add_nc_u32_e32 v23, v23, v21
	v_mad_u64_u32 v[17:18], null, 0xf534ddc0, v22, v[13:14]
	s_delay_alu instid0(VALU_DEP_2) | instskip(NEXT) | instid1(VALU_DEP_2)
	v_cmp_lt_u32_e64 s1, 31, v23
	v_mov_b32_e32 v13, v18
	s_delay_alu instid0(VALU_DEP_3) | instskip(NEXT) | instid1(VALU_DEP_2)
	v_cndmask_b32_e32 v15, v17, v15, vcc_lo
	v_mad_u64_u32 v[18:19], null, 0xfc2757d1, v22, v[13:14]
	s_delay_alu instid0(VALU_DEP_2) | instskip(NEXT) | instid1(VALU_DEP_2)
	v_cndmask_b32_e64 v12, v15, v12, s0
	v_mov_b32_e32 v13, v19
	s_delay_alu instid0(VALU_DEP_1) | instskip(NEXT) | instid1(VALU_DEP_1)
	v_mad_u64_u32 v[19:20], null, 0x4e441529, v22, v[13:14]
	v_mov_b32_e32 v13, v20
	s_delay_alu instid0(VALU_DEP_1) | instskip(SKIP_1) | instid1(VALU_DEP_1)
	v_mad_u64_u32 v[20:21], null, 0xa2f9836e, v22, v[13:14]
	v_cndmask_b32_e64 v13, 0, 0xffffffe0, s1
	v_dual_cndmask_b32 v14, v19, v17 :: v_dual_add_nc_u32 v13, v13, v23
	s_delay_alu instid0(VALU_DEP_3) | instskip(NEXT) | instid1(VALU_DEP_4)
	v_cndmask_b32_e32 v20, v20, v18, vcc_lo
	v_dual_cndmask_b32 v18, v18, v16 :: v_dual_cndmask_b32 v19, v21, v19
	s_delay_alu instid0(VALU_DEP_3) | instskip(NEXT) | instid1(VALU_DEP_3)
	v_cmp_eq_u32_e64 s3, 0, v13
	v_cndmask_b32_e64 v17, v20, v14, s0
	s_delay_alu instid0(VALU_DEP_3) | instskip(NEXT) | instid1(VALU_DEP_4)
	v_cndmask_b32_e64 v14, v14, v18, s0
	v_cndmask_b32_e64 v19, v19, v20, s0
	v_sub_nc_u32_e32 v20, 32, v13
	v_cndmask_b32_e64 v18, v18, v15, s0
	s_delay_alu instid0(VALU_DEP_3) | instskip(SKIP_1) | instid1(VALU_DEP_3)
	v_cndmask_b32_e64 v19, v19, v17, s1
	v_cndmask_b32_e64 v17, v17, v14, s1
	;; [unrolled: 1-line block ×4, first 2 shown]
	s_delay_alu instid0(VALU_DEP_3) | instskip(NEXT) | instid1(VALU_DEP_3)
	v_alignbit_b32 v21, v19, v17, v20
	v_alignbit_b32 v22, v17, v14, v20
	s_delay_alu instid0(VALU_DEP_3) | instskip(NEXT) | instid1(VALU_DEP_3)
	v_alignbit_b32 v20, v14, v12, v20
	v_cndmask_b32_e64 v13, v21, v19, s3
	s_delay_alu instid0(VALU_DEP_3) | instskip(NEXT) | instid1(VALU_DEP_3)
	v_cndmask_b32_e64 v16, v22, v17, s3
	v_cndmask_b32_e64 v14, v20, v14, s3
	s_delay_alu instid0(VALU_DEP_3) | instskip(NEXT) | instid1(VALU_DEP_3)
	v_bfe_u32 v17, v13, 29, 1
	v_alignbit_b32 v15, v13, v16, 30
	s_delay_alu instid0(VALU_DEP_3) | instskip(SKIP_1) | instid1(VALU_DEP_4)
	v_alignbit_b32 v16, v16, v14, 30
	v_alignbit_b32 v12, v14, v12, 30
	v_sub_nc_u32_e32 v19, 0, v17
	s_delay_alu instid0(VALU_DEP_1) | instskip(SKIP_3) | instid1(VALU_DEP_4)
	v_xor_b32_e32 v18, v15, v19
	v_cmp_ne_u32_e32 vcc_lo, v15, v19
	v_xor_b32_e32 v14, v16, v19
	v_xor_b32_e32 v12, v12, v19
	v_clz_i32_u32_e32 v21, v18
	s_delay_alu instid0(VALU_DEP_1) | instskip(NEXT) | instid1(VALU_DEP_1)
	v_add_nc_u32_e32 v20, 1, v21
	v_cndmask_b32_e32 v15, 33, v20, vcc_lo
	s_delay_alu instid0(VALU_DEP_1) | instskip(NEXT) | instid1(VALU_DEP_1)
	v_sub_nc_u32_e32 v16, 32, v15
	v_alignbit_b32 v18, v18, v14, v16
	v_alignbit_b32 v12, v14, v12, v16
	v_lshrrev_b32_e32 v14, 29, v13
	v_lshrrev_b32_e32 v13, 30, v13
	s_delay_alu instid0(VALU_DEP_3) | instskip(NEXT) | instid1(VALU_DEP_3)
	v_alignbit_b32 v16, v18, v12, 9
	v_lshlrev_b32_e32 v14, 31, v14
	v_alignbit_b32 v18, v15, v18, 9
	s_delay_alu instid0(VALU_DEP_4) | instskip(NEXT) | instid1(VALU_DEP_4)
	v_add_nc_u32_e32 v13, v17, v13
	v_clz_i32_u32_e32 v19, v16
	s_delay_alu instid0(VALU_DEP_3) | instskip(SKIP_1) | instid1(VALU_DEP_3)
	v_or_b32_e32 v18, v18, v14
	v_or_b32_e32 v14, 0x33800000, v14
	v_min_u32_e32 v19, 32, v19
	s_delay_alu instid0(VALU_DEP_3) | instskip(NEXT) | instid1(VALU_DEP_2)
	v_xor_b32_e32 v18, 1.0, v18
	v_sub_nc_u32_e32 v20, 31, v19
	v_add_lshl_u32 v15, v19, v15, 23
	s_delay_alu instid0(VALU_DEP_3) | instskip(NEXT) | instid1(VALU_DEP_3)
	v_mul_f32_e32 v19, 0x3fc90fda, v18
	v_alignbit_b32 v12, v16, v12, v20
	s_delay_alu instid0(VALU_DEP_3) | instskip(NEXT) | instid1(VALU_DEP_3)
	v_sub_nc_u32_e32 v14, v14, v15
	v_fma_f32 v15, 0x3fc90fda, v18, -v19
	s_delay_alu instid0(VALU_DEP_3) | instskip(NEXT) | instid1(VALU_DEP_2)
	v_lshrrev_b32_e32 v12, 9, v12
	v_fmamk_f32 v15, v18, 0x33a22168, v15
	s_delay_alu instid0(VALU_DEP_2) | instskip(NEXT) | instid1(VALU_DEP_1)
	v_or_b32_e32 v12, v14, v12
	v_fmac_f32_e32 v15, 0x3fc90fda, v12
	s_delay_alu instid0(VALU_DEP_1)
	v_add_f32_e32 v12, v19, v15
.LBB1_3:
	s_and_not1_saveexec_b32 s0, s12
; %bb.4:
	v_mul_f32_e32 v12, 0x3f22f983, v9
	s_delay_alu instid0(VALU_DEP_1) | instskip(NEXT) | instid1(VALU_DEP_1)
	v_rndne_f32_e32 v13, v12
	v_fmamk_f32 v12, v13, 0xbfc90fda, v9
	s_delay_alu instid0(VALU_DEP_1) | instskip(NEXT) | instid1(VALU_DEP_1)
	v_fmamk_f32 v12, v13, 0xb3a22168, v12
	v_fmamk_f32 v12, v13, 0xa7c234c4, v12
	v_cvt_i32_f32_e32 v13, v13
; %bb.5:
	s_or_b32 exec_lo, exec_lo, s0
	v_cvt_f32_i32_e32 v11, v11
	s_mov_b32 s1, 0x41c64e6d
	s_delay_alu instid0(VALU_DEP_1) | instskip(NEXT) | instid1(VALU_DEP_1)
	v_mul_f32_e32 v11, 0x30000000, v11
	v_cmp_gt_f32_e64 s0, 0x800000, |v11|
	s_delay_alu instid0(VALU_DEP_1) | instskip(NEXT) | instid1(VALU_DEP_1)
	v_cndmask_b32_e64 v14, 1.0, 0x4f800000, s0
	v_mul_f32_e64 v11, |v11|, v14
	v_mad_u64_u32 v[14:15], null, v10, s1, 0x3039
	s_delay_alu instid0(VALU_DEP_2) | instskip(NEXT) | instid1(VALU_DEP_1)
	v_log_f32_e32 v11, v11
	v_mul_hi_i32 v15, 0x40000001, v14
	s_waitcnt_depctr 0xfff
	v_cmp_gt_f32_e64 vcc_lo, 0x7f800000, |v11|
	v_lshrrev_b32_e32 v17, 31, v15
	v_ashrrev_i32_e32 v15, 29, v15
	v_mul_f32_e32 v16, 0x3f317217, v11
	s_delay_alu instid0(VALU_DEP_1) | instskip(NEXT) | instid1(VALU_DEP_1)
	v_fma_f32 v10, 0x3f317217, v11, -v16
	v_fmamk_f32 v10, v11, 0x3377d1cf, v10
	s_delay_alu instid0(VALU_DEP_1) | instskip(SKIP_2) | instid1(VALU_DEP_2)
	v_add_f32_e32 v10, v16, v10
	v_cndmask_b32_e64 v16, 0, 0x41b17218, s0
	s_mov_b32 s0, 0xb94c1982
	v_cndmask_b32_e32 v10, v11, v10, vcc_lo
	v_add_nc_u32_e32 v11, v15, v17
	v_lshlrev_b32_e32 v17, 30, v13
	s_delay_alu instid0(VALU_DEP_3) | instskip(NEXT) | instid1(VALU_DEP_3)
	v_dual_sub_f32 v10, v10, v16 :: v_dual_and_b32 v13, 1, v13
	v_mul_lo_u32 v11, 0x7fffffff, v11
	s_delay_alu instid0(VALU_DEP_2) | instskip(NEXT) | instid1(VALU_DEP_2)
	v_mul_f32_e32 v15, -2.0, v10
	v_sub_nc_u32_e32 v10, v14, v11
	s_delay_alu instid0(VALU_DEP_2) | instskip(SKIP_1) | instid1(VALU_DEP_2)
	v_mul_f32_e32 v16, 0x4f800000, v15
	v_cmp_gt_f32_e32 vcc_lo, 0xf800000, v15
	v_cndmask_b32_e32 v11, v15, v16, vcc_lo
	s_delay_alu instid0(VALU_DEP_4) | instskip(SKIP_2) | instid1(VALU_DEP_1)
	v_mad_u64_u32 v[14:15], null, v10, s1, 0x3039
	v_mul_f32_e32 v15, v12, v12
	s_mov_b32 s1, 0x37d75334
	v_fmaak_f32 v18, s0, v15, 0x3c0881c4
	s_delay_alu instid0(VALU_DEP_3) | instskip(NEXT) | instid1(VALU_DEP_2)
	v_mul_hi_i32 v19, 0x40000001, v14
	v_fmaak_f32 v18, v15, v18, 0xbe2aaa9d
	v_and_b32_e32 v17, 0x80000000, v17
	s_delay_alu instid0(VALU_DEP_3) | instskip(NEXT) | instid1(VALU_DEP_3)
	v_lshrrev_b32_e32 v22, 31, v19
	v_mul_f32_e32 v18, v15, v18
	v_ashrrev_i32_e32 v19, 29, v19
	s_delay_alu instid0(VALU_DEP_2) | instskip(SKIP_1) | instid1(VALU_DEP_2)
	v_fmac_f32_e32 v12, v12, v18
	v_sqrt_f32_e32 v16, v11
	v_dual_fmaak_f32 v20, s1, v15, 0xbab64f3b :: v_dual_add_nc_u32 v19, v19, v22
	s_delay_alu instid0(VALU_DEP_1) | instskip(SKIP_3) | instid1(VALU_DEP_2)
	v_mul_lo_u32 v18, 0x7fffffff, v19
	s_waitcnt_depctr 0xfff
	v_add_nc_u32_e32 v23, 1, v16
	v_add_nc_u32_e32 v21, -1, v16
	v_fma_f32 v22, -v23, v16, v11
	s_delay_alu instid0(VALU_DEP_2) | instskip(SKIP_1) | instid1(VALU_DEP_2)
	v_fma_f32 v24, -v21, v16, v11
	v_sub_nc_u32_e32 v14, v14, v18
	v_cmp_ge_f32_e64 s0, 0, v24
	s_delay_alu instid0(VALU_DEP_1) | instskip(SKIP_1) | instid1(VALU_DEP_1)
	v_cndmask_b32_e64 v16, v16, v21, s0
	v_cmp_lt_f32_e64 s0, 0, v22
	v_cndmask_b32_e64 v16, v16, v23, s0
	v_cmp_eq_u32_e64 s0, 0, v13
	s_delay_alu instid0(VALU_DEP_2) | instskip(NEXT) | instid1(VALU_DEP_1)
	v_mul_f32_e32 v13, 0x37800000, v16
	v_dual_cndmask_b32 v13, v16, v13 :: v_dual_fmaak_f32 v20, v15, v20, 0x3d2aabf7
	v_cmp_lg_f32_e32 vcc_lo, 0x7f800000, v9
	s_delay_alu instid0(VALU_DEP_2) | instskip(NEXT) | instid1(VALU_DEP_1)
	v_fmaak_f32 v20, v15, v20, 0xbf000004
	v_fma_f32 v15, v15, v20, 1.0
	s_delay_alu instid0(VALU_DEP_1) | instskip(SKIP_1) | instid1(VALU_DEP_1)
	v_cndmask_b32_e64 v12, -v12, v15, s0
	s_mov_b32 s0, exec_lo
	v_xor_b32_e32 v12, v17, v12
	s_delay_alu instid0(VALU_DEP_1) | instskip(SKIP_3) | instid1(VALU_DEP_2)
	v_cndmask_b32_e32 v9, 0x7fc00000, v12, vcc_lo
	v_cmp_class_f32_e64 vcc_lo, v11, 0x260
	v_cvt_f32_i32_e32 v12, v14
	v_cndmask_b32_e32 v11, v13, v11, vcc_lo
	v_dual_mov_b32 v13, 1.0 :: v_dual_mul_f32 v12, 0x30000000, v12
	s_delay_alu instid0(VALU_DEP_2) | instskip(NEXT) | instid1(VALU_DEP_2)
	v_mul_f32_e32 v11, v11, v9
	v_mul_f32_e64 v9, 0x40c90fdb, |v12|
	s_delay_alu instid0(VALU_DEP_2) | instskip(SKIP_3) | instid1(VALU_DEP_3)
	v_fmamk_f32 v13, v11, 0x40a00000, v13
	v_add_co_u32 v11, vcc_lo, s16, v3
	v_add_co_ci_u32_e32 v12, vcc_lo, s17, v4, vcc_lo
	s_waitcnt vmcnt(1)
	v_add_f32_e32 v8, v8, v13
	global_store_b32 v[11:12], v8, off
	global_store_b32 v[5:6], v14, off
                                        ; implicit-def: $vgpr6
                                        ; implicit-def: $vgpr5
	v_cmpx_ngt_f32_e32 0x48000000, v9
	s_xor_b32 s12, exec_lo, s0
	s_cbranch_execz .LBB1_7
; %bb.6:
	s_mov_b32 s0, 0x7fffff
	s_delay_alu instid0(SALU_CYCLE_1) | instskip(NEXT) | instid1(VALU_DEP_1)
	v_and_or_b32 v8, v9, s0, 0x800000
	v_mad_u64_u32 v[5:6], null, 0xfe5163ab, v8, 0
	s_delay_alu instid0(VALU_DEP_1) | instskip(SKIP_1) | instid1(VALU_DEP_2)
	v_dual_mov_b32 v12, 0 :: v_dual_mov_b32 v11, v6
	v_lshrrev_b32_e32 v6, 23, v9
	v_mad_u64_u32 v[13:14], null, 0x3c439041, v8, v[11:12]
	s_delay_alu instid0(VALU_DEP_2) | instskip(NEXT) | instid1(VALU_DEP_1)
	v_add_nc_u32_e32 v6, 0xffffff88, v6
	v_cmp_lt_u32_e32 vcc_lo, 63, v6
	s_delay_alu instid0(VALU_DEP_3) | instskip(SKIP_1) | instid1(VALU_DEP_2)
	v_mov_b32_e32 v11, v14
	v_cndmask_b32_e64 v18, 0, 0xffffffc0, vcc_lo
	v_mad_u64_u32 v[14:15], null, 0xdb629599, v8, v[11:12]
	s_delay_alu instid0(VALU_DEP_1) | instskip(NEXT) | instid1(VALU_DEP_1)
	v_dual_mov_b32 v11, v15 :: v_dual_add_nc_u32 v6, v18, v6
	v_cmp_lt_u32_e64 s0, 31, v6
	s_delay_alu instid0(VALU_DEP_2) | instskip(NEXT) | instid1(VALU_DEP_2)
	v_mad_u64_u32 v[15:16], null, 0xf534ddc0, v8, v[11:12]
	v_cndmask_b32_e64 v19, 0, 0xffffffe0, s0
	s_delay_alu instid0(VALU_DEP_1) | instskip(NEXT) | instid1(VALU_DEP_1)
	v_dual_mov_b32 v11, v16 :: v_dual_add_nc_u32 v6, v19, v6
	v_cmp_lt_u32_e64 s1, 31, v6
	s_delay_alu instid0(VALU_DEP_2) | instskip(NEXT) | instid1(VALU_DEP_1)
	v_mad_u64_u32 v[16:17], null, 0xfc2757d1, v8, v[11:12]
	v_mov_b32_e32 v11, v17
	s_delay_alu instid0(VALU_DEP_1) | instskip(NEXT) | instid1(VALU_DEP_1)
	v_mad_u64_u32 v[17:18], null, 0x4e441529, v8, v[11:12]
	v_mov_b32_e32 v11, v18
	s_delay_alu instid0(VALU_DEP_1) | instskip(SKIP_1) | instid1(VALU_DEP_1)
	v_mad_u64_u32 v[18:19], null, 0xa2f9836e, v8, v[11:12]
	v_cndmask_b32_e64 v8, 0, 0xffffffe0, s1
	v_dual_cndmask_b32 v11, v17, v15 :: v_dual_add_nc_u32 v6, v8, v6
	s_delay_alu instid0(VALU_DEP_3) | instskip(SKIP_2) | instid1(VALU_DEP_4)
	v_dual_cndmask_b32 v12, v18, v16 :: v_dual_cndmask_b32 v17, v19, v17
	v_cndmask_b32_e32 v16, v16, v14, vcc_lo
	v_cndmask_b32_e32 v8, v15, v13, vcc_lo
	v_sub_nc_u32_e32 v15, 32, v6
	s_delay_alu instid0(VALU_DEP_4) | instskip(SKIP_4) | instid1(VALU_DEP_4)
	v_cndmask_b32_e64 v13, v12, v11, s0
	v_cndmask_b32_e64 v12, v17, v12, s0
	;; [unrolled: 1-line block ×4, first 2 shown]
	v_cmp_eq_u32_e64 s3, 0, v6
	v_cndmask_b32_e64 v12, v12, v13, s1
	s_delay_alu instid0(VALU_DEP_4) | instskip(NEXT) | instid1(VALU_DEP_4)
	v_cndmask_b32_e64 v13, v13, v11, s1
	v_cndmask_b32_e64 v11, v11, v16, s1
	s_delay_alu instid0(VALU_DEP_2) | instskip(NEXT) | instid1(VALU_DEP_2)
	v_alignbit_b32 v17, v12, v13, v15
	v_alignbit_b32 v18, v13, v11, v15
	s_delay_alu instid0(VALU_DEP_2) | instskip(NEXT) | instid1(VALU_DEP_2)
	v_cndmask_b32_e64 v6, v17, v12, s3
	v_cndmask_b32_e64 v12, v18, v13, s3
	s_delay_alu instid0(VALU_DEP_2) | instskip(SKIP_1) | instid1(VALU_DEP_2)
	v_bfe_u32 v13, v6, 29, 1
	v_cndmask_b32_e32 v5, v14, v5, vcc_lo
	v_sub_nc_u32_e32 v14, 0, v13
	s_delay_alu instid0(VALU_DEP_2) | instskip(SKIP_1) | instid1(VALU_DEP_2)
	v_cndmask_b32_e64 v5, v8, v5, s0
	v_alignbit_b32 v8, v6, v12, 30
	v_cndmask_b32_e64 v5, v16, v5, s1
	s_delay_alu instid0(VALU_DEP_2) | instskip(SKIP_1) | instid1(VALU_DEP_3)
	v_xor_b32_e32 v16, v8, v14
	v_cmp_ne_u32_e32 vcc_lo, v8, v14
	v_alignbit_b32 v15, v11, v5, v15
	s_delay_alu instid0(VALU_DEP_3) | instskip(NEXT) | instid1(VALU_DEP_2)
	v_clz_i32_u32_e32 v17, v16
	v_cndmask_b32_e64 v11, v15, v11, s3
	s_delay_alu instid0(VALU_DEP_2) | instskip(NEXT) | instid1(VALU_DEP_2)
	v_add_nc_u32_e32 v15, 1, v17
	v_alignbit_b32 v12, v12, v11, 30
	s_delay_alu instid0(VALU_DEP_2) | instskip(SKIP_1) | instid1(VALU_DEP_3)
	v_cndmask_b32_e32 v8, 33, v15, vcc_lo
	v_alignbit_b32 v5, v11, v5, 30
	v_xor_b32_e32 v11, v12, v14
	s_delay_alu instid0(VALU_DEP_3) | instskip(NEXT) | instid1(VALU_DEP_3)
	v_sub_nc_u32_e32 v12, 32, v8
	v_xor_b32_e32 v5, v5, v14
	s_delay_alu instid0(VALU_DEP_2) | instskip(NEXT) | instid1(VALU_DEP_2)
	v_alignbit_b32 v14, v16, v11, v12
	v_alignbit_b32 v5, v11, v5, v12
	v_lshrrev_b32_e32 v11, 29, v6
	v_lshrrev_b32_e32 v6, 30, v6
	s_delay_alu instid0(VALU_DEP_3) | instskip(NEXT) | instid1(VALU_DEP_3)
	v_alignbit_b32 v12, v14, v5, 9
	v_lshlrev_b32_e32 v11, 31, v11
	s_delay_alu instid0(VALU_DEP_3) | instskip(SKIP_1) | instid1(VALU_DEP_4)
	v_add_nc_u32_e32 v6, v13, v6
	v_alignbit_b32 v14, v8, v14, 9
	v_clz_i32_u32_e32 v15, v12
	s_delay_alu instid0(VALU_DEP_2) | instskip(SKIP_1) | instid1(VALU_DEP_3)
	v_or_b32_e32 v14, v14, v11
	v_or_b32_e32 v11, 0x33800000, v11
	v_min_u32_e32 v15, 32, v15
	s_delay_alu instid0(VALU_DEP_3) | instskip(NEXT) | instid1(VALU_DEP_2)
	v_xor_b32_e32 v14, 1.0, v14
	v_sub_nc_u32_e32 v16, 31, v15
	v_add_lshl_u32 v8, v15, v8, 23
	s_delay_alu instid0(VALU_DEP_3) | instskip(NEXT) | instid1(VALU_DEP_3)
	v_mul_f32_e32 v15, 0x3fc90fda, v14
	v_alignbit_b32 v5, v12, v5, v16
	s_delay_alu instid0(VALU_DEP_3) | instskip(NEXT) | instid1(VALU_DEP_3)
	v_sub_nc_u32_e32 v8, v11, v8
	v_fma_f32 v11, 0x3fc90fda, v14, -v15
	s_delay_alu instid0(VALU_DEP_3) | instskip(NEXT) | instid1(VALU_DEP_2)
	v_lshrrev_b32_e32 v5, 9, v5
	v_fmamk_f32 v11, v14, 0x33a22168, v11
	s_delay_alu instid0(VALU_DEP_2) | instskip(NEXT) | instid1(VALU_DEP_1)
	v_or_b32_e32 v5, v8, v5
	v_fmac_f32_e32 v11, 0x3fc90fda, v5
	s_delay_alu instid0(VALU_DEP_1)
	v_add_f32_e32 v5, v15, v11
.LBB1_7:
	s_and_not1_saveexec_b32 s0, s12
; %bb.8:
	v_mul_f32_e32 v5, 0x3f22f983, v9
	s_delay_alu instid0(VALU_DEP_1) | instskip(NEXT) | instid1(VALU_DEP_1)
	v_rndne_f32_e32 v6, v5
	v_fmamk_f32 v5, v6, 0xbfc90fda, v9
	s_delay_alu instid0(VALU_DEP_1) | instskip(NEXT) | instid1(VALU_DEP_1)
	v_fmamk_f32 v5, v6, 0xb3a22168, v5
	v_fmamk_f32 v5, v6, 0xa7c234c4, v5
	v_cvt_i32_f32_e32 v6, v6
; %bb.9:
	s_or_b32 exec_lo, exec_lo, s0
	v_cvt_f32_i32_e32 v8, v10
	s_mov_b32 s1, 0x37d75334
	s_delay_alu instid0(VALU_DEP_2) | instskip(SKIP_1) | instid1(VALU_DEP_3)
	v_and_b32_e32 v17, 1, v6
	v_lshlrev_b32_e32 v6, 30, v6
	v_mul_f32_e32 v8, 0x30000000, v8
	s_delay_alu instid0(VALU_DEP_2) | instskip(NEXT) | instid1(VALU_DEP_2)
	v_and_b32_e32 v6, 0x80000000, v6
	v_cmp_gt_f32_e64 s0, 0x800000, |v8|
	s_delay_alu instid0(VALU_DEP_1) | instskip(NEXT) | instid1(VALU_DEP_1)
	v_cndmask_b32_e64 v10, 1.0, 0x4f800000, s0
	v_mul_f32_e64 v8, |v8|, v10
	s_delay_alu instid0(VALU_DEP_1) | instskip(SKIP_3) | instid1(VALU_DEP_2)
	v_log_f32_e32 v8, v8
	s_waitcnt_depctr 0xfff
	v_mul_f32_e32 v10, 0x3f317217, v8
	v_cmp_gt_f32_e64 vcc_lo, 0x7f800000, |v8|
	v_fma_f32 v11, 0x3f317217, v8, -v10
	s_delay_alu instid0(VALU_DEP_1) | instskip(NEXT) | instid1(VALU_DEP_1)
	v_fmamk_f32 v11, v8, 0x3377d1cf, v11
	v_add_f32_e32 v10, v10, v11
	v_cndmask_b32_e64 v11, 0, 0x41b17218, s0
	s_mov_b32 s0, 0xb94c1982
	s_delay_alu instid0(VALU_DEP_2) | instskip(NEXT) | instid1(VALU_DEP_1)
	v_cndmask_b32_e32 v8, v8, v10, vcc_lo
	v_dual_sub_f32 v8, v8, v11 :: v_dual_mul_f32 v11, v5, v5
	s_delay_alu instid0(VALU_DEP_1) | instskip(NEXT) | instid1(VALU_DEP_2)
	v_mul_f32_e32 v8, -2.0, v8
	v_fmaak_f32 v14, s1, v11, 0xbab64f3b
	v_fmaak_f32 v13, s0, v11, 0x3c0881c4
	s_delay_alu instid0(VALU_DEP_3) | instskip(SKIP_1) | instid1(VALU_DEP_4)
	v_mul_f32_e32 v10, 0x4f800000, v8
	v_cmp_gt_f32_e32 vcc_lo, 0xf800000, v8
	v_fmaak_f32 v14, v11, v14, 0x3d2aabf7
	s_delay_alu instid0(VALU_DEP_3) | instskip(NEXT) | instid1(VALU_DEP_1)
	v_dual_fmaak_f32 v13, v11, v13, 0xbe2aaa9d :: v_dual_cndmask_b32 v8, v8, v10
	v_sqrt_f32_e32 v10, v8
	s_waitcnt_depctr 0xfff
	v_add_nc_u32_e32 v12, -1, v10
	v_add_nc_u32_e32 v15, 1, v10
	s_delay_alu instid0(VALU_DEP_2) | instskip(NEXT) | instid1(VALU_DEP_2)
	v_fma_f32 v16, -v12, v10, v8
	v_fma_f32 v18, -v15, v10, v8
	s_delay_alu instid0(VALU_DEP_2) | instskip(NEXT) | instid1(VALU_DEP_1)
	v_cmp_ge_f32_e64 s0, 0, v16
	v_cndmask_b32_e64 v10, v10, v12, s0
	s_delay_alu instid0(VALU_DEP_3) | instskip(SKIP_1) | instid1(VALU_DEP_2)
	v_cmp_lt_f32_e64 s0, 0, v18
	v_mul_f32_e32 v12, v11, v13
	v_cndmask_b32_e64 v10, v10, v15, s0
	s_delay_alu instid0(VALU_DEP_2) | instskip(SKIP_1) | instid1(VALU_DEP_3)
	v_fmac_f32_e32 v5, v5, v12
	v_cmp_eq_u32_e64 s0, 0, v17
	v_mul_f32_e32 v12, 0x37800000, v10
	s_delay_alu instid0(VALU_DEP_1) | instskip(NEXT) | instid1(VALU_DEP_1)
	v_dual_fmaak_f32 v13, v11, v14, 0xbf000004 :: v_dual_cndmask_b32 v10, v10, v12
	v_fma_f32 v11, v11, v13, 1.0
	v_cmp_class_f32_e64 vcc_lo, v8, 0x260
	s_delay_alu instid0(VALU_DEP_2) | instskip(NEXT) | instid1(VALU_DEP_1)
	v_cndmask_b32_e64 v5, -v5, v11, s0
	v_xor_b32_e32 v5, v6, v5
	v_cndmask_b32_e32 v6, v10, v8, vcc_lo
	v_cmp_lg_f32_e32 vcc_lo, 0x7f800000, v9
	s_delay_alu instid0(VALU_DEP_3) | instskip(SKIP_2) | instid1(VALU_DEP_3)
	v_cndmask_b32_e32 v5, 0x7fc00000, v5, vcc_lo
	v_add_co_u32 v3, vcc_lo, s18, v3
	v_add_co_ci_u32_e32 v4, vcc_lo, s19, v4, vcc_lo
	v_mul_f32_e32 v5, v6, v5
	s_delay_alu instid0(VALU_DEP_1) | instskip(SKIP_1) | instid1(VALU_DEP_1)
	v_fma_f32 v5, v5, 2.0, -2.0
	s_waitcnt vmcnt(0)
	v_add_f32_e32 v5, v7, v5
	global_store_b32 v[3:4], v5, off
.LBB1_10:
	s_or_b32 exec_lo, exec_lo, s21
	v_mov_b32_e32 v3, 0
	s_waitcnt_vscnt null, 0x0
	s_barrier
	buffer_gl0_inv
	s_and_saveexec_b32 s0, s2
	s_cbranch_execz .LBB1_19
; %bb.11:
	s_cmp_gt_i32 s13, 0
	s_mov_b32 s1, 0
	s_cbranch_scc1 .LBB1_13
; %bb.12:
	s_mov_b32 s2, 0
	s_delay_alu instid0(SALU_CYCLE_1)
	v_mov_b32_e32 v5, s2
	s_and_not1_b32 vcc_lo, exec_lo, s1
	s_cbranch_vccz .LBB1_14
	s_branch .LBB1_18
.LBB1_13:
                                        ; implicit-def: $sgpr2
	v_mov_b32_e32 v5, s2
.LBB1_14:
	v_lshlrev_b64 v[3:4], 2, v[1:2]
	s_add_u32 s1, s6, 4
	s_addc_u32 s2, s7, 0
	s_mov_b32 s3, s13
	s_delay_alu instid0(VALU_DEP_1) | instskip(NEXT) | instid1(VALU_DEP_2)
	v_add_co_u32 v5, vcc_lo, s16, v3
	v_add_co_ci_u32_e32 v6, vcc_lo, s17, v4, vcc_lo
	v_add_co_u32 v3, vcc_lo, s18, v3
	v_add_co_ci_u32_e32 v4, vcc_lo, s19, v4, vcc_lo
	global_load_b32 v5, v[5:6], off
	global_load_b32 v6, v[3:4], off
	v_mul_lo_u32 v3, v1, s13
	s_delay_alu instid0(VALU_DEP_1) | instskip(NEXT) | instid1(VALU_DEP_1)
	v_ashrrev_i32_e32 v4, 31, v3
	v_lshlrev_b64 v[3:4], 2, v[3:4]
	s_delay_alu instid0(VALU_DEP_1) | instskip(NEXT) | instid1(VALU_DEP_2)
	v_add_co_u32 v3, vcc_lo, s4, v3
	v_add_co_ci_u32_e32 v4, vcc_lo, s5, v4, vcc_lo
	s_waitcnt vmcnt(1)
	v_cvt_i32_f32_e32 v7, v5
	s_waitcnt vmcnt(0)
	v_cvt_i32_f32_e32 v8, v6
	v_dual_mov_b32 v6, v4 :: v_dual_mov_b32 v5, v3
	.p2align	6
.LBB1_15:                               ; =>This Inner Loop Header: Depth=1
	s_add_u32 s4, s1, -4
	s_addc_u32 s5, s2, -1
	s_add_i32 s3, s3, -1
	s_load_b64 s[4:5], s[4:5], 0x0
	s_add_u32 s1, s1, 8
	s_addc_u32 s2, s2, 0
	s_cmp_eq_u32 s3, 0
	s_waitcnt lgkmcnt(0)
	v_add_nc_u32_e32 v9, s5, v7
	s_delay_alu instid0(VALU_DEP_1) | instskip(NEXT) | instid1(VALU_DEP_1)
	v_mul_lo_u32 v9, v9, s14
	v_add3_u32 v11, s4, v8, v9
	s_delay_alu instid0(VALU_DEP_1) | instskip(NEXT) | instid1(VALU_DEP_1)
	v_mad_u64_u32 v[9:10], null, v11, s15, s[26:27]
	v_sub_nc_u32_e32 v10, 0, v9
	s_delay_alu instid0(VALU_DEP_1) | instskip(NEXT) | instid1(VALU_DEP_1)
	v_max_i32_e32 v9, v9, v10
	v_cmp_gt_i32_e32 vcc_lo, s27, v9
	v_cndmask_b32_e32 v9, 0, v9, vcc_lo
	global_store_b32 v[5:6], v9, off
	v_add_co_u32 v5, vcc_lo, v5, 4
	v_add_co_ci_u32_e32 v6, vcc_lo, 0, v6, vcc_lo
	s_cbranch_scc0 .LBB1_15
; %bb.16:
	v_mov_b32_e32 v5, 0
	s_mov_b32 s1, s13
	s_set_inst_prefetch_distance 0x1
	.p2align	6
.LBB1_17:                               ; =>This Inner Loop Header: Depth=1
	global_load_b32 v6, v[3:4], off
	s_add_i32 s1, s1, -1
	s_delay_alu instid0(SALU_CYCLE_1) | instskip(SKIP_3) | instid1(VALU_DEP_2)
	s_cmp_eq_u32 s1, 0
	s_waitcnt vmcnt(0)
	v_ashrrev_i32_e32 v7, 31, v6
	v_add_co_u32 v6, vcc_lo, s10, v6
	v_add_co_ci_u32_e32 v7, vcc_lo, s11, v7, vcc_lo
	global_load_u8 v6, v[6:7], off
	s_waitcnt vmcnt(0)
	v_lshl_add_u32 v6, v6, 8, 0xffff5c00
	s_delay_alu instid0(VALU_DEP_1) | instskip(NEXT) | instid1(VALU_DEP_1)
	v_cvt_f32_i32_e32 v6, v6
	v_div_scale_f32 v7, null, 0x42480000, 0x42480000, v6
	v_div_scale_f32 v10, vcc_lo, v6, 0x42480000, v6
	s_delay_alu instid0(VALU_DEP_2) | instskip(SKIP_2) | instid1(VALU_DEP_1)
	v_rcp_f32_e32 v8, v7
	s_waitcnt_depctr 0xfff
	v_fma_f32 v9, -v7, v8, 1.0
	v_fmac_f32_e32 v8, v9, v8
	s_delay_alu instid0(VALU_DEP_1) | instskip(NEXT) | instid1(VALU_DEP_1)
	v_mul_f32_e32 v9, v10, v8
	v_fma_f32 v11, -v7, v9, v10
	s_delay_alu instid0(VALU_DEP_1) | instskip(NEXT) | instid1(VALU_DEP_1)
	v_fmac_f32_e32 v9, v11, v8
	v_fma_f32 v7, -v7, v9, v10
	s_delay_alu instid0(VALU_DEP_1) | instskip(SKIP_2) | instid1(VALU_DEP_3)
	v_div_fmas_f32 v7, v7, v8, v9
	v_add_co_u32 v3, vcc_lo, v3, 4
	v_add_co_ci_u32_e32 v4, vcc_lo, 0, v4, vcc_lo
	v_div_fixup_f32 v6, v7, 0x42480000, v6
	s_delay_alu instid0(VALU_DEP_1)
	v_add_f32_e32 v5, v5, v6
	s_cbranch_scc0 .LBB1_17
.LBB1_18:
	s_set_inst_prefetch_distance 0x2
	v_lshlrev_b64 v[1:2], 2, v[1:2]
	v_cvt_f32_i32_e32 v4, s13
	s_delay_alu instid0(VALU_DEP_1) | instskip(NEXT) | instid1(VALU_DEP_3)
	v_div_scale_f32 v8, null, v4, v4, v5
	v_add_co_u32 v6, vcc_lo, s24, v1
	s_delay_alu instid0(VALU_DEP_4) | instskip(NEXT) | instid1(VALU_DEP_3)
	v_add_co_ci_u32_e32 v7, vcc_lo, s25, v2, vcc_lo
	v_rcp_f32_e32 v9, v8
	global_load_b32 v3, v[6:7], off
	v_fma_f32 v10, -v8, v9, 1.0
	s_delay_alu instid0(VALU_DEP_1) | instskip(SKIP_1) | instid1(VALU_DEP_1)
	v_fmac_f32_e32 v9, v10, v9
	v_div_scale_f32 v10, vcc_lo, v5, v4, v5
	v_mul_f32_e32 v11, v10, v9
	s_delay_alu instid0(VALU_DEP_1) | instskip(NEXT) | instid1(VALU_DEP_1)
	v_fma_f32 v12, -v8, v11, v10
	v_fmac_f32_e32 v11, v12, v9
	s_delay_alu instid0(VALU_DEP_1) | instskip(NEXT) | instid1(VALU_DEP_1)
	v_fma_f32 v8, -v8, v11, v10
	v_div_fmas_f32 v8, v8, v9, v11
	s_delay_alu instid0(VALU_DEP_1) | instskip(NEXT) | instid1(VALU_DEP_1)
	v_div_fixup_f32 v4, v8, v4, v5
	v_add_f32_e32 v4, 0xc3960000, v4
	s_delay_alu instid0(VALU_DEP_1) | instskip(SKIP_1) | instid1(VALU_DEP_2)
	v_mul_f32_e32 v5, 0x3fb8aa3b, v4
	v_cmp_ngt_f32_e32 vcc_lo, 0xc2ce8ed0, v4
	v_fma_f32 v8, 0x3fb8aa3b, v4, -v5
	v_rndne_f32_e32 v9, v5
	s_delay_alu instid0(VALU_DEP_1) | instskip(NEXT) | instid1(VALU_DEP_1)
	v_dual_fmamk_f32 v8, v4, 0x32a5705f, v8 :: v_dual_sub_f32 v5, v5, v9
	v_add_f32_e32 v5, v5, v8
	v_cvt_i32_f32_e32 v8, v9
	s_delay_alu instid0(VALU_DEP_2) | instskip(SKIP_2) | instid1(VALU_DEP_1)
	v_exp_f32_e32 v5, v5
	s_waitcnt_depctr 0xfff
	v_ldexp_f32 v5, v5, v8
	v_cndmask_b32_e32 v5, 0, v5, vcc_lo
	v_cmp_nlt_f32_e32 vcc_lo, 0x42b17218, v4
	s_delay_alu instid0(VALU_DEP_2) | instskip(SKIP_3) | instid1(VALU_DEP_3)
	v_cndmask_b32_e32 v5, 0x7f800000, v5, vcc_lo
	v_add_co_u32 v1, vcc_lo, s8, v1
	v_add_co_ci_u32_e32 v2, vcc_lo, s9, v2, vcc_lo
	s_waitcnt vmcnt(0)
	v_mul_f32_e32 v3, v5, v3
	global_store_b32 v[1:2], v4, off
	global_store_b32 v[6:7], v3, off
.LBB1_19:
	s_or_b32 exec_lo, exec_lo, s0
	v_lshlrev_b32_e32 v1, 2, v0
	s_mov_b32 s0, exec_lo
	ds_store_b32 v1, v3
	s_waitcnt lgkmcnt(0)
	s_waitcnt_vscnt null, 0x0
	s_barrier
	buffer_gl0_inv
	v_cmpx_gt_u32_e32 0x80, v0
	s_cbranch_execz .LBB1_21
; %bb.20:
	ds_load_2addr_stride64_b32 v[2:3], v1 offset1:2
	s_waitcnt lgkmcnt(0)
	v_add_f32_e32 v2, v3, v2
	ds_store_b32 v1, v2
.LBB1_21:
	s_or_b32 exec_lo, exec_lo, s0
	s_delay_alu instid0(SALU_CYCLE_1)
	s_mov_b32 s0, exec_lo
	s_waitcnt lgkmcnt(0)
	s_barrier
	buffer_gl0_inv
	v_cmpx_gt_u32_e32 64, v0
	s_cbranch_execz .LBB1_23
; %bb.22:
	ds_load_2addr_stride64_b32 v[2:3], v1 offset1:1
	s_waitcnt lgkmcnt(0)
	v_add_f32_e32 v2, v3, v2
	ds_store_b32 v1, v2
.LBB1_23:
	s_or_b32 exec_lo, exec_lo, s0
	s_delay_alu instid0(SALU_CYCLE_1)
	s_mov_b32 s0, exec_lo
	s_waitcnt lgkmcnt(0)
	s_barrier
	buffer_gl0_inv
	v_cmpx_gt_u32_e32 32, v0
	s_cbranch_execz .LBB1_25
; %bb.24:
	ds_load_2addr_b32 v[2:3], v1 offset1:32
	s_waitcnt lgkmcnt(0)
	v_add_f32_e32 v2, v3, v2
	ds_store_b32 v1, v2
.LBB1_25:
	s_or_b32 exec_lo, exec_lo, s0
	s_delay_alu instid0(SALU_CYCLE_1)
	s_mov_b32 s0, exec_lo
	s_waitcnt lgkmcnt(0)
	s_barrier
	buffer_gl0_inv
	v_cmpx_gt_u32_e32 16, v0
	s_cbranch_execz .LBB1_27
; %bb.26:
	ds_load_2addr_b32 v[2:3], v1 offset1:16
	s_waitcnt lgkmcnt(0)
	v_add_f32_e32 v2, v3, v2
	ds_store_b32 v1, v2
.LBB1_27:
	;; [unrolled: 14-line block ×5, first 2 shown]
	s_or_b32 exec_lo, exec_lo, s0
	v_cmp_eq_u32_e32 vcc_lo, 0, v0
	s_waitcnt lgkmcnt(0)
	s_barrier
	buffer_gl0_inv
	s_and_saveexec_b32 s0, vcc_lo
	s_cbranch_execz .LBB1_35
; %bb.34:
	v_mov_b32_e32 v0, 0
	ds_load_b32 v0, v0 offset:4
	ds_load_b32 v2, v1
	s_waitcnt lgkmcnt(0)
	v_add_f32_e32 v0, v0, v2
	ds_store_b32 v1, v0
.LBB1_35:
	s_or_b32 exec_lo, exec_lo, s0
	s_waitcnt lgkmcnt(0)
	s_barrier
	buffer_gl0_inv
	s_and_saveexec_b32 s0, vcc_lo
	s_cbranch_execz .LBB1_37
; %bb.36:
	v_mov_b32_e32 v0, 0
	s_ashr_i32 s21, s20, 31
	s_delay_alu instid0(SALU_CYCLE_1) | instskip(NEXT) | instid1(SALU_CYCLE_1)
	s_lshl_b64 s[0:1], s[20:21], 2
	s_add_u32 s0, s22, s0
	ds_load_b32 v1, v0
	s_addc_u32 s1, s23, s1
	s_waitcnt lgkmcnt(0)
	global_store_b32 v0, v1, s[0:1]
.LBB1_37:
	s_nop 0
	s_sendmsg sendmsg(MSG_DEALLOC_VGPRS)
	s_endpgm
	.section	.rodata,"a",@progbits
	.p2align	6, 0x0
	.amdhsa_kernel _Z17kernel_likelihoodPfS_PKfS1_PiPKiS_PKhS_S2_S_iiiiii
		.amdhsa_group_segment_fixed_size 1024
		.amdhsa_private_segment_fixed_size 0
		.amdhsa_kernarg_size 368
		.amdhsa_user_sgpr_count 15
		.amdhsa_user_sgpr_dispatch_ptr 0
		.amdhsa_user_sgpr_queue_ptr 0
		.amdhsa_user_sgpr_kernarg_segment_ptr 1
		.amdhsa_user_sgpr_dispatch_id 0
		.amdhsa_user_sgpr_private_segment_size 0
		.amdhsa_wavefront_size32 1
		.amdhsa_uses_dynamic_stack 0
		.amdhsa_enable_private_segment 0
		.amdhsa_system_sgpr_workgroup_id_x 1
		.amdhsa_system_sgpr_workgroup_id_y 0
		.amdhsa_system_sgpr_workgroup_id_z 0
		.amdhsa_system_sgpr_workgroup_info 0
		.amdhsa_system_vgpr_workitem_id 0
		.amdhsa_next_free_vgpr 25
		.amdhsa_next_free_sgpr 36
		.amdhsa_reserve_vcc 1
		.amdhsa_float_round_mode_32 0
		.amdhsa_float_round_mode_16_64 0
		.amdhsa_float_denorm_mode_32 3
		.amdhsa_float_denorm_mode_16_64 3
		.amdhsa_dx10_clamp 1
		.amdhsa_ieee_mode 1
		.amdhsa_fp16_overflow 0
		.amdhsa_workgroup_processor_mode 1
		.amdhsa_memory_ordered 1
		.amdhsa_forward_progress 0
		.amdhsa_shared_vgpr_count 0
		.amdhsa_exception_fp_ieee_invalid_op 0
		.amdhsa_exception_fp_denorm_src 0
		.amdhsa_exception_fp_ieee_div_zero 0
		.amdhsa_exception_fp_ieee_overflow 0
		.amdhsa_exception_fp_ieee_underflow 0
		.amdhsa_exception_fp_ieee_inexact 0
		.amdhsa_exception_int_div_zero 0
	.end_amdhsa_kernel
	.text
.Lfunc_end1:
	.size	_Z17kernel_likelihoodPfS_PKfS1_PiPKiS_PKhS_S2_S_iiiiii, .Lfunc_end1-_Z17kernel_likelihoodPfS_PKfS1_PiPKiS_PKhS_S2_S_iiiiii
                                        ; -- End function
	.section	.AMDGPU.csdata,"",@progbits
; Kernel info:
; codeLenInByte = 4544
; NumSgprs: 38
; NumVgprs: 25
; ScratchSize: 0
; MemoryBound: 0
; FloatMode: 240
; IeeeMode: 1
; LDSByteSize: 1024 bytes/workgroup (compile time only)
; SGPRBlocks: 4
; VGPRBlocks: 3
; NumSGPRsForWavesPerEU: 38
; NumVGPRsForWavesPerEU: 25
; Occupancy: 16
; WaveLimiterHint : 1
; COMPUTE_PGM_RSRC2:SCRATCH_EN: 0
; COMPUTE_PGM_RSRC2:USER_SGPR: 15
; COMPUTE_PGM_RSRC2:TRAP_HANDLER: 0
; COMPUTE_PGM_RSRC2:TGID_X_EN: 1
; COMPUTE_PGM_RSRC2:TGID_Y_EN: 0
; COMPUTE_PGM_RSRC2:TGID_Z_EN: 0
; COMPUTE_PGM_RSRC2:TIDIG_COMP_CNT: 0
	.text
	.protected	_Z24kernel_normalize_weightsPfPKfS_S_Pii ; -- Begin function _Z24kernel_normalize_weightsPfPKfS_S_Pii
	.globl	_Z24kernel_normalize_weightsPfPKfS_S_Pii
	.p2align	8
	.type	_Z24kernel_normalize_weightsPfPKfS_S_Pii,@function
_Z24kernel_normalize_weightsPfPKfS_S_Pii: ; @_Z24kernel_normalize_weightsPfPKfS_S_Pii
; %bb.0:
	s_clause 0x1
	s_load_b64 s[6:7], s[0:1], 0x0
	s_load_b32 s3, s[0:1], 0x3c
	v_cmp_eq_u32_e64 s2, 0, v0
	s_delay_alu instid0(VALU_DEP_1)
	s_and_saveexec_b32 s4, s2
	s_cbranch_execz .LBB2_2
; %bb.1:
	s_load_b64 s[8:9], s[0:1], 0x8
	s_waitcnt lgkmcnt(0)
	s_load_b32 s5, s[8:9], 0x0
	s_waitcnt lgkmcnt(0)
	v_dual_mov_b32 v1, 0 :: v_dual_mov_b32 v2, s5
	ds_store_b32 v1, v2
.LBB2_2:
	s_or_b32 exec_lo, exec_lo, s4
	s_clause 0x1
	s_load_b32 s10, s[0:1], 0x28
	s_load_b64 s[4:5], s[0:1], 0x18
	s_waitcnt lgkmcnt(0)
	s_and_b32 s3, 0xffff, s3
	s_delay_alu instid0(SALU_CYCLE_1) | instskip(SKIP_4) | instid1(VALU_DEP_1)
	v_mad_u64_u32 v[1:2], null, s15, s3, v[0:1]
	s_barrier
	buffer_gl0_inv
	v_ashrrev_i32_e32 v2, 31, v1
	v_cmp_gt_i32_e64 s3, s10, v1
	s_and_saveexec_b32 s8, s3
	s_cbranch_execz .LBB2_4
; %bb.3:
	s_delay_alu instid0(VALU_DEP_2)
	v_lshlrev_b64 v[3:4], 2, v[1:2]
	v_mov_b32_e32 v5, 0
	ds_load_b32 v5, v5
	v_add_co_u32 v3, vcc_lo, s6, v3
	v_add_co_ci_u32_e32 v4, vcc_lo, s7, v4, vcc_lo
	global_load_b32 v0, v[3:4], off
	s_waitcnt vmcnt(0) lgkmcnt(0)
	v_div_scale_f32 v6, null, v5, v5, v0
	s_delay_alu instid0(VALU_DEP_1) | instskip(SKIP_2) | instid1(VALU_DEP_1)
	v_rcp_f32_e32 v7, v6
	s_waitcnt_depctr 0xfff
	v_fma_f32 v8, -v6, v7, 1.0
	v_fmac_f32_e32 v7, v8, v7
	v_div_scale_f32 v8, vcc_lo, v0, v5, v0
	s_delay_alu instid0(VALU_DEP_1) | instskip(NEXT) | instid1(VALU_DEP_1)
	v_mul_f32_e32 v9, v8, v7
	v_fma_f32 v10, -v6, v9, v8
	s_delay_alu instid0(VALU_DEP_1) | instskip(NEXT) | instid1(VALU_DEP_1)
	v_fmac_f32_e32 v9, v10, v7
	v_fma_f32 v6, -v6, v9, v8
	s_delay_alu instid0(VALU_DEP_1) | instskip(NEXT) | instid1(VALU_DEP_1)
	v_div_fmas_f32 v6, v6, v7, v9
	v_div_fixup_f32 v0, v6, v5, v0
	global_store_b32 v[3:4], v0, off
.LBB2_4:
	s_or_b32 exec_lo, exec_lo, s8
	s_delay_alu instid0(SALU_CYCLE_1)
	s_mov_b32 s11, exec_lo
	s_waitcnt_vscnt null, 0x0
	s_barrier
	buffer_gl0_inv
	v_cmpx_eq_u32_e32 0, v1
	s_cbranch_execz .LBB2_13
; %bb.5:
	v_mov_b32_e32 v0, 0
	s_cmp_lt_i32 s10, 2
	global_load_b32 v3, v0, s[6:7]
	s_clause 0x1
	s_load_b64 s[8:9], s[0:1], 0x10
	s_load_b64 s[0:1], s[0:1], 0x20
	s_waitcnt vmcnt(0) lgkmcnt(0)
	global_store_b32 v0, v3, s[8:9]
	s_cbranch_scc1 .LBB2_8
; %bb.6:
	s_add_i32 s12, s10, -1
	s_add_u32 s8, s8, 4
	s_addc_u32 s9, s9, 0
	s_add_u32 s6, s6, 4
	s_addc_u32 s7, s7, 0
.LBB2_7:                                ; =>This Inner Loop Header: Depth=1
	global_load_b32 v4, v0, s[6:7]
	s_add_i32 s12, s12, -1
	s_waitcnt vmcnt(0)
	v_add_f32_e32 v3, v4, v3
	global_store_b32 v0, v3, s[8:9]
	s_add_u32 s8, s8, 4
	s_addc_u32 s9, s9, 0
	s_add_u32 s6, s6, 4
	s_addc_u32 s7, s7, 0
	s_cmp_eq_u32 s12, 0
	s_cbranch_scc0 .LBB2_7
.LBB2_8:
	s_load_b32 s6, s[0:1], 0x0
	s_waitcnt lgkmcnt(0)
	s_mul_i32 s6, s6, 0x41c64e6d
	s_delay_alu instid0(SALU_CYCLE_1) | instskip(NEXT) | instid1(SALU_CYCLE_1)
	s_addk_i32 s6, 0x3039
	s_mul_hi_i32 s7, s6, 0x40000001
	s_delay_alu instid0(SALU_CYCLE_1) | instskip(SKIP_1) | instid1(SALU_CYCLE_1)
	s_lshr_b32 s8, s7, 31
	s_ashr_i32 s7, s7, 29
	s_add_i32 s7, s7, s8
	s_delay_alu instid0(SALU_CYCLE_1) | instskip(NEXT) | instid1(SALU_CYCLE_1)
	s_mul_i32 s7, s7, 0x7fffffff
	s_sub_i32 s7, s6, s7
	s_delay_alu instid0(SALU_CYCLE_1) | instskip(NEXT) | instid1(SALU_CYCLE_1)
	s_mul_i32 s6, s7, 0x41c64e6d
	s_addk_i32 s6, 0x3039
	s_delay_alu instid0(SALU_CYCLE_1) | instskip(NEXT) | instid1(SALU_CYCLE_1)
	s_mul_hi_i32 s8, s6, 0x40000001
	s_lshr_b32 s9, s8, 31
	s_ashr_i32 s8, s8, 29
	s_delay_alu instid0(SALU_CYCLE_1) | instskip(NEXT) | instid1(SALU_CYCLE_1)
	s_add_i32 s8, s8, s9
	s_mul_i32 s8, s8, 0x7fffffff
	s_delay_alu instid0(SALU_CYCLE_1) | instskip(NEXT) | instid1(SALU_CYCLE_1)
	s_sub_i32 s6, s6, s8
	v_cvt_f32_i32_e32 v3, s6
	s_delay_alu instid0(VALU_DEP_1) | instskip(SKIP_2) | instid1(VALU_DEP_1)
	v_dual_mov_b32 v4, s6 :: v_dual_mul_f32 v3, 0x30000000, v3
	global_store_b32 v0, v4, s[0:1]
	v_mul_f32_e64 v3, 0x40c90fdb, |v3|
	v_cmp_ngt_f32_e32 vcc_lo, 0x48000000, v3
	v_readfirstlane_b32 s6, v3
	s_cbranch_vccz .LBB2_10
; %bb.9:
	s_delay_alu instid0(VALU_DEP_1)
	s_and_b32 s0, s6, 0x7fffff
	s_lshr_b32 s1, s6, 23
	s_bitset1_b32 s0, 23
	s_addk_i32 s1, 0xff88
	s_mul_hi_u32 s8, s0, 0xfe5163ab
	s_mul_i32 s9, s0, 0x3c439041
	s_mul_hi_u32 s12, s0, 0x3c439041
	s_add_u32 s8, s8, s9
	s_addc_u32 s9, 0, s12
	s_mul_i32 s12, s0, 0xdb629599
	s_mul_hi_u32 s13, s0, 0xdb629599
	s_add_u32 s9, s9, s12
	s_addc_u32 s12, 0, s13
	;; [unrolled: 4-line block ×5, first 2 shown]
	s_cmp_gt_u32 s1, 63
	s_mul_i32 s16, s0, 0xfe5163ab
	s_mul_hi_u32 s17, s0, 0xa2f9836e
	s_mul_i32 s0, s0, 0xa2f9836e
	s_cselect_b32 s18, s9, s13
	s_cselect_b32 s8, s8, s12
	;; [unrolled: 1-line block ×3, first 2 shown]
	s_add_u32 s0, s15, s0
	s_addc_u32 s15, 0, s17
	s_cmp_gt_u32 s1, 63
	s_cselect_b32 s16, 0xffffffc0, 0
	s_cselect_b32 s12, s12, s14
	s_cselect_b32 s0, s13, s0
	s_cselect_b32 s13, s14, s15
	s_add_i32 s16, s16, s1
	s_delay_alu instid0(SALU_CYCLE_1)
	s_cmp_gt_u32 s16, 31
	s_cselect_b32 s1, 0xffffffe0, 0
	s_cselect_b32 s14, s12, s0
	;; [unrolled: 1-line block ×6, first 2 shown]
	s_add_i32 s1, s1, s16
	s_delay_alu instid0(SALU_CYCLE_1)
	s_cmp_gt_u32 s1, 31
	s_cselect_b32 s9, 0xffffffe0, 0
	s_cselect_b32 s0, s14, s0
	;; [unrolled: 1-line block ×5, first 2 shown]
	s_add_i32 s9, s9, s1
	s_delay_alu instid0(SALU_CYCLE_1) | instskip(SKIP_3) | instid1(VALU_DEP_1)
	s_sub_i32 s1, 32, s9
	s_cmp_eq_u32 s9, 0
	v_mov_b32_e32 v0, s1
	s_cselect_b32 s9, -1, 0
	v_alignbit_b32 v3, s0, s14, v0
	v_alignbit_b32 v4, s14, s12, v0
	;; [unrolled: 1-line block ×3, first 2 shown]
	s_delay_alu instid0(VALU_DEP_3) | instskip(NEXT) | instid1(VALU_DEP_3)
	v_readfirstlane_b32 s1, v3
	v_cndmask_b32_e64 v3, v4, s14, s9
	s_delay_alu instid0(VALU_DEP_3) | instskip(NEXT) | instid1(VALU_DEP_3)
	v_cndmask_b32_e64 v0, v0, s12, s9
	s_cselect_b32 s0, s0, s1
	s_delay_alu instid0(VALU_DEP_2) | instid1(SALU_CYCLE_1)
	v_alignbit_b32 v4, s0, v3, 30
	s_bfe_u32 s1, s0, 0x1001d
	s_delay_alu instid0(VALU_DEP_2)
	v_alignbit_b32 v3, v3, v0, 30
	s_sub_i32 s13, 0, s1
	v_alignbit_b32 v0, v0, s8, 30
	v_xor_b32_e32 v5, s13, v4
	v_cmp_ne_u32_e32 vcc_lo, s13, v4
	v_xor_b32_e32 v3, s13, v3
	s_lshr_b32 s8, s0, 29
	v_xor_b32_e32 v0, s13, v0
	v_clz_i32_u32_e32 v6, v5
	s_lshl_b32 s8, s8, 31
	s_delay_alu instid0(VALU_DEP_1) | instskip(NEXT) | instid1(VALU_DEP_1)
	v_add_nc_u32_e32 v6, 1, v6
	v_cndmask_b32_e32 v4, 33, v6, vcc_lo
	s_delay_alu instid0(VALU_DEP_1) | instskip(NEXT) | instid1(VALU_DEP_1)
	v_sub_nc_u32_e32 v6, 32, v4
	v_alignbit_b32 v5, v5, v3, v6
	v_alignbit_b32 v0, v3, v0, v6
	s_delay_alu instid0(VALU_DEP_1) | instskip(SKIP_1) | instid1(VALU_DEP_2)
	v_alignbit_b32 v3, v5, v0, 9
	v_alignbit_b32 v5, v4, v5, 9
	v_clz_i32_u32_e32 v6, v3
	s_delay_alu instid0(VALU_DEP_2) | instskip(SKIP_1) | instid1(VALU_DEP_2)
	v_or_b32_e32 v5, s8, v5
	s_or_b32 s8, s8, 0x33800000
	v_min_u32_e32 v6, 32, v6
	s_delay_alu instid0(VALU_DEP_2) | instskip(NEXT) | instid1(VALU_DEP_2)
	v_xor_b32_e32 v5, 1.0, v5
	v_sub_nc_u32_e32 v7, 31, v6
	v_add_nc_u32_e32 v4, v6, v4
	s_delay_alu instid0(VALU_DEP_2) | instskip(NEXT) | instid1(VALU_DEP_2)
	v_alignbit_b32 v0, v3, v0, v7
	v_dual_mul_f32 v4, 0x3fc90fda, v5 :: v_dual_lshlrev_b32 v3, 23, v4
	s_delay_alu instid0(VALU_DEP_2) | instskip(NEXT) | instid1(VALU_DEP_2)
	v_lshrrev_b32_e32 v0, 9, v0
	v_sub_nc_u32_e32 v3, s8, v3
	s_delay_alu instid0(VALU_DEP_3) | instskip(SKIP_1) | instid1(SALU_CYCLE_1)
	v_fma_f32 v6, 0x3fc90fda, v5, -v4
	s_lshr_b32 s8, s0, 30
	s_add_i32 s1, s1, s8
	s_delay_alu instid0(VALU_DEP_2) | instskip(NEXT) | instid1(VALU_DEP_2)
	v_or_b32_e32 v0, v3, v0
	v_fmamk_f32 v3, v5, 0x33a22168, v6
	s_delay_alu instid0(VALU_DEP_1) | instskip(NEXT) | instid1(VALU_DEP_1)
	v_fmac_f32_e32 v3, 0x3fc90fda, v0
	v_dual_add_f32 v0, v4, v3 :: v_dual_mov_b32 v3, s1
	s_cbranch_execz .LBB2_11
	s_branch .LBB2_12
.LBB2_10:
                                        ; implicit-def: $sgpr1
                                        ; implicit-def: $vgpr0
	v_mov_b32_e32 v3, s1
.LBB2_11:
	s_delay_alu instid0(VALU_DEP_2) | instskip(NEXT) | instid1(VALU_DEP_1)
	v_mul_f32_e64 v0, 0x3f22f983, s6
	v_rndne_f32_e32 v4, v0
	v_mov_b32_e32 v3, s6
	s_delay_alu instid0(VALU_DEP_1) | instskip(SKIP_1) | instid1(VALU_DEP_2)
	v_fmamk_f32 v0, v4, 0xbfc90fda, v3
	v_cvt_i32_f32_e32 v3, v4
	v_fmamk_f32 v0, v4, 0xb3a22168, v0
	s_delay_alu instid0(VALU_DEP_1)
	v_fmamk_f32 v0, v4, 0xa7c234c4, v0
.LBB2_12:
	v_cvt_f32_i32_e32 v4, s7
	s_mov_b32 s1, 0x37d75334
	v_and_b32_e32 v9, 1, v3
	s_delay_alu instid0(VALU_DEP_3) | instskip(NEXT) | instid1(VALU_DEP_3)
	v_dual_mul_f32 v8, v0, v0 :: v_dual_lshlrev_b32 v3, 30, v3
	v_mul_f32_e32 v4, 0x30000000, v4
	s_delay_alu instid0(VALU_DEP_2) | instskip(NEXT) | instid1(VALU_DEP_2)
	v_and_b32_e32 v3, 0x80000000, v3
	v_cmp_gt_f32_e64 s0, 0x800000, |v4|
	s_delay_alu instid0(VALU_DEP_1) | instskip(NEXT) | instid1(VALU_DEP_1)
	v_cndmask_b32_e64 v5, 1.0, 0x4f800000, s0
	v_mul_f32_e64 v4, |v4|, v5
	s_delay_alu instid0(VALU_DEP_1) | instskip(SKIP_3) | instid1(VALU_DEP_2)
	v_log_f32_e32 v4, v4
	s_waitcnt_depctr 0xfff
	v_mul_f32_e32 v5, 0x3f317217, v4
	v_cmp_gt_f32_e64 vcc_lo, 0x7f800000, |v4|
	v_fma_f32 v6, 0x3f317217, v4, -v5
	s_delay_alu instid0(VALU_DEP_1) | instskip(NEXT) | instid1(VALU_DEP_1)
	v_fmamk_f32 v6, v4, 0x3377d1cf, v6
	v_add_f32_e32 v5, v5, v6
	v_cndmask_b32_e64 v6, 0, 0x41b17218, s0
	s_mov_b32 s0, 0xb94c1982
	s_delay_alu instid0(SALU_CYCLE_1) | instskip(NEXT) | instid1(VALU_DEP_3)
	v_fmaak_f32 v11, s0, v8, 0x3c0881c4
	v_cndmask_b32_e32 v4, v4, v5, vcc_lo
	v_cvt_f32_i32_e32 v5, s10
	s_delay_alu instid0(VALU_DEP_3) | instskip(NEXT) | instid1(VALU_DEP_3)
	v_fmaak_f32 v11, v8, v11, 0xbe2aaa9d
	v_sub_f32_e32 v4, v4, v6
	s_delay_alu instid0(VALU_DEP_3) | instskip(NEXT) | instid1(VALU_DEP_3)
	v_div_scale_f32 v7, null, v5, v5, 1.0
	v_dual_fmaak_f32 v12, s1, v8, 0xbab64f3b :: v_dual_mul_f32 v11, v8, v11
	s_delay_alu instid0(VALU_DEP_3) | instskip(SKIP_1) | instid1(VALU_DEP_2)
	v_mul_f32_e32 v4, -2.0, v4
	v_div_scale_f32 v13, s0, 1.0, v5, 1.0
	v_mul_f32_e32 v6, 0x4f800000, v4
	v_cmp_gt_f32_e32 vcc_lo, 0xf800000, v4
	s_delay_alu instid0(VALU_DEP_2) | instskip(SKIP_2) | instid1(VALU_DEP_2)
	v_cndmask_b32_e32 v4, v4, v6, vcc_lo
	v_rcp_f32_e32 v6, v7
	v_fmac_f32_e32 v0, v0, v11
	v_sqrt_f32_e32 v10, v4
	s_waitcnt_depctr 0xfff
	v_fma_f32 v14, -v7, v6, 1.0
	v_add_nc_u32_e32 v15, -1, v10
	s_delay_alu instid0(VALU_DEP_2) | instskip(SKIP_2) | instid1(VALU_DEP_4)
	v_fmac_f32_e32 v6, v14, v6
	v_fmaak_f32 v12, v8, v12, 0x3d2aabf7
	v_add_nc_u32_e32 v14, 1, v10
	v_fma_f32 v16, -v15, v10, v4
	s_delay_alu instid0(VALU_DEP_3) | instskip(NEXT) | instid1(VALU_DEP_2)
	v_dual_mul_f32 v11, v13, v6 :: v_dual_fmaak_f32 v12, v8, v12, 0xbf000004
	v_cmp_ge_f32_e64 s1, 0, v16
	s_delay_alu instid0(VALU_DEP_2) | instskip(SKIP_1) | instid1(VALU_DEP_3)
	v_fma_f32 v8, v8, v12, 1.0
	v_fma_f32 v12, -v14, v10, v4
	v_cndmask_b32_e64 v10, v10, v15, s1
	v_cmp_eq_u32_e64 s1, 0, v9
	v_fma_f32 v15, -v7, v11, v13
	s_delay_alu instid0(VALU_DEP_2) | instskip(NEXT) | instid1(VALU_DEP_2)
	v_cndmask_b32_e64 v0, -v0, v8, s1
	v_fmac_f32_e32 v11, v15, v6
	v_cmp_lt_f32_e64 s1, 0, v12
	s_delay_alu instid0(VALU_DEP_3) | instskip(NEXT) | instid1(VALU_DEP_3)
	v_xor_b32_e32 v0, v3, v0
	v_fma_f32 v7, -v7, v11, v13
	s_delay_alu instid0(VALU_DEP_3) | instskip(SKIP_1) | instid1(VALU_DEP_2)
	v_cndmask_b32_e64 v8, v10, v14, s1
	v_cmp_lg_f32_e64 s1, 0x7f800000, s6
	v_mul_f32_e32 v3, 0x37800000, v8
	s_delay_alu instid0(VALU_DEP_2) | instskip(NEXT) | instid1(VALU_DEP_2)
	v_cndmask_b32_e64 v0, 0x7fc00000, v0, s1
	v_cndmask_b32_e32 v3, v8, v3, vcc_lo
	s_mov_b32 vcc_lo, s0
	v_div_fmas_f32 v6, v7, v6, v11
	v_cmp_class_f32_e64 vcc_lo, v4, 0x260
	s_delay_alu instid0(VALU_DEP_3) | instskip(NEXT) | instid1(VALU_DEP_3)
	v_cndmask_b32_e32 v3, v3, v4, vcc_lo
	v_div_fixup_f32 v4, v6, v5, 1.0
	s_delay_alu instid0(VALU_DEP_2) | instskip(NEXT) | instid1(VALU_DEP_1)
	v_dual_mul_f32 v0, v3, v0 :: v_dual_mov_b32 v3, 0
	v_mul_f32_e32 v0, v4, v0
	global_store_b32 v3, v0, s[4:5]
.LBB2_13:
	s_or_b32 exec_lo, exec_lo, s11
	s_waitcnt_vscnt null, 0x0
	s_barrier
	buffer_gl0_inv
	s_and_saveexec_b32 s0, s2
	s_cbranch_execz .LBB2_15
; %bb.14:
	v_mov_b32_e32 v0, 0
	global_load_b32 v3, v0, s[4:5]
	s_waitcnt vmcnt(0)
	ds_store_b32 v0, v3 offset:4
.LBB2_15:
	s_or_b32 exec_lo, exec_lo, s0
	s_waitcnt lgkmcnt(0)
	s_barrier
	buffer_gl0_inv
	s_and_saveexec_b32 s0, s3
	s_cbranch_execz .LBB2_17
; %bb.16:
	v_cvt_f32_i32_e32 v0, v1
	v_cvt_f32_i32_e32 v3, s10
	v_mov_b32_e32 v8, 0
	s_delay_alu instid0(VALU_DEP_2)
	v_div_scale_f32 v4, null, v3, v3, v0
	v_div_scale_f32 v7, vcc_lo, v0, v3, v0
	ds_load_b32 v8, v8 offset:4
	v_rcp_f32_e32 v5, v4
	s_waitcnt_depctr 0xfff
	v_fma_f32 v6, -v4, v5, 1.0
	s_delay_alu instid0(VALU_DEP_1) | instskip(NEXT) | instid1(VALU_DEP_1)
	v_fmac_f32_e32 v5, v6, v5
	v_mul_f32_e32 v6, v7, v5
	s_delay_alu instid0(VALU_DEP_1) | instskip(NEXT) | instid1(VALU_DEP_1)
	v_fma_f32 v9, -v4, v6, v7
	v_fmac_f32_e32 v6, v9, v5
	s_delay_alu instid0(VALU_DEP_1) | instskip(NEXT) | instid1(VALU_DEP_1)
	v_fma_f32 v4, -v4, v6, v7
	v_div_fmas_f32 v4, v4, v5, v6
	s_delay_alu instid0(VALU_DEP_1) | instskip(SKIP_2) | instid1(VALU_DEP_2)
	v_div_fixup_f32 v3, v4, v3, v0
	v_lshlrev_b64 v[0:1], 2, v[1:2]
	s_waitcnt lgkmcnt(0)
	v_add_f32_e32 v2, v3, v8
	s_delay_alu instid0(VALU_DEP_2) | instskip(NEXT) | instid1(VALU_DEP_3)
	v_add_co_u32 v0, vcc_lo, s4, v0
	v_add_co_ci_u32_e32 v1, vcc_lo, s5, v1, vcc_lo
	global_store_b32 v[0:1], v2, off
.LBB2_17:
	s_nop 0
	s_sendmsg sendmsg(MSG_DEALLOC_VGPRS)
	s_endpgm
	.section	.rodata,"a",@progbits
	.p2align	6, 0x0
	.amdhsa_kernel _Z24kernel_normalize_weightsPfPKfS_S_Pii
		.amdhsa_group_segment_fixed_size 8
		.amdhsa_private_segment_fixed_size 0
		.amdhsa_kernarg_size 304
		.amdhsa_user_sgpr_count 15
		.amdhsa_user_sgpr_dispatch_ptr 0
		.amdhsa_user_sgpr_queue_ptr 0
		.amdhsa_user_sgpr_kernarg_segment_ptr 1
		.amdhsa_user_sgpr_dispatch_id 0
		.amdhsa_user_sgpr_private_segment_size 0
		.amdhsa_wavefront_size32 1
		.amdhsa_uses_dynamic_stack 0
		.amdhsa_enable_private_segment 0
		.amdhsa_system_sgpr_workgroup_id_x 1
		.amdhsa_system_sgpr_workgroup_id_y 0
		.amdhsa_system_sgpr_workgroup_id_z 0
		.amdhsa_system_sgpr_workgroup_info 0
		.amdhsa_system_vgpr_workitem_id 0
		.amdhsa_next_free_vgpr 17
		.amdhsa_next_free_sgpr 19
		.amdhsa_reserve_vcc 1
		.amdhsa_float_round_mode_32 0
		.amdhsa_float_round_mode_16_64 0
		.amdhsa_float_denorm_mode_32 3
		.amdhsa_float_denorm_mode_16_64 3
		.amdhsa_dx10_clamp 1
		.amdhsa_ieee_mode 1
		.amdhsa_fp16_overflow 0
		.amdhsa_workgroup_processor_mode 1
		.amdhsa_memory_ordered 1
		.amdhsa_forward_progress 0
		.amdhsa_shared_vgpr_count 0
		.amdhsa_exception_fp_ieee_invalid_op 0
		.amdhsa_exception_fp_denorm_src 0
		.amdhsa_exception_fp_ieee_div_zero 0
		.amdhsa_exception_fp_ieee_overflow 0
		.amdhsa_exception_fp_ieee_underflow 0
		.amdhsa_exception_fp_ieee_inexact 0
		.amdhsa_exception_int_div_zero 0
	.end_amdhsa_kernel
	.text
.Lfunc_end2:
	.size	_Z24kernel_normalize_weightsPfPKfS_S_Pii, .Lfunc_end2-_Z24kernel_normalize_weightsPfPKfS_S_Pii
                                        ; -- End function
	.section	.AMDGPU.csdata,"",@progbits
; Kernel info:
; codeLenInByte = 2160
; NumSgprs: 21
; NumVgprs: 17
; ScratchSize: 0
; MemoryBound: 0
; FloatMode: 240
; IeeeMode: 1
; LDSByteSize: 8 bytes/workgroup (compile time only)
; SGPRBlocks: 2
; VGPRBlocks: 2
; NumSGPRsForWavesPerEU: 21
; NumVGPRsForWavesPerEU: 17
; Occupancy: 16
; WaveLimiterHint : 0
; COMPUTE_PGM_RSRC2:SCRATCH_EN: 0
; COMPUTE_PGM_RSRC2:USER_SGPR: 15
; COMPUTE_PGM_RSRC2:TRAP_HANDLER: 0
; COMPUTE_PGM_RSRC2:TGID_X_EN: 1
; COMPUTE_PGM_RSRC2:TGID_Y_EN: 0
; COMPUTE_PGM_RSRC2:TGID_Z_EN: 0
; COMPUTE_PGM_RSRC2:TIDIG_COMP_CNT: 0
	.text
	.protected	_Z10kernel_sumPfi       ; -- Begin function _Z10kernel_sumPfi
	.globl	_Z10kernel_sumPfi
	.p2align	8
	.type	_Z10kernel_sumPfi,@function
_Z10kernel_sumPfi:                      ; @_Z10kernel_sumPfi
; %bb.0:
	s_clause 0x1
	s_load_b32 s2, s[0:1], 0x8
	s_load_b64 s[0:1], s[0:1], 0x0
	s_waitcnt lgkmcnt(0)
	s_cmp_lt_i32 s2, 1
	s_cbranch_scc1 .LBB3_4
; %bb.1:
	v_mov_b32_e32 v0, 0
	s_addk_i32 s2, 0xff
	s_delay_alu instid0(SALU_CYCLE_1)
	s_lshr_b32 s4, s2, 8
	s_mov_b64 s[2:3], s[0:1]
.LBB3_2:                                ; =>This Inner Loop Header: Depth=1
	s_load_b32 s5, s[2:3], 0x0
	s_add_i32 s4, s4, -1
	s_add_u32 s2, s2, 4
	s_addc_u32 s3, s3, 0
	s_cmp_lg_u32 s4, 0
	s_waitcnt lgkmcnt(0)
	v_add_f32_e32 v0, s5, v0
	s_cbranch_scc1 .LBB3_2
; %bb.3:
	v_mov_b32_e32 v1, 0
	global_store_b32 v1, v0, s[0:1]
	s_nop 0
	s_sendmsg sendmsg(MSG_DEALLOC_VGPRS)
	s_endpgm
.LBB3_4:
	v_dual_mov_b32 v0, 0 :: v_dual_mov_b32 v1, 0
	global_store_b32 v1, v0, s[0:1]
	s_nop 0
	s_sendmsg sendmsg(MSG_DEALLOC_VGPRS)
	s_endpgm
	.section	.rodata,"a",@progbits
	.p2align	6, 0x0
	.amdhsa_kernel _Z10kernel_sumPfi
		.amdhsa_group_segment_fixed_size 0
		.amdhsa_private_segment_fixed_size 0
		.amdhsa_kernarg_size 12
		.amdhsa_user_sgpr_count 15
		.amdhsa_user_sgpr_dispatch_ptr 0
		.amdhsa_user_sgpr_queue_ptr 0
		.amdhsa_user_sgpr_kernarg_segment_ptr 1
		.amdhsa_user_sgpr_dispatch_id 0
		.amdhsa_user_sgpr_private_segment_size 0
		.amdhsa_wavefront_size32 1
		.amdhsa_uses_dynamic_stack 0
		.amdhsa_enable_private_segment 0
		.amdhsa_system_sgpr_workgroup_id_x 1
		.amdhsa_system_sgpr_workgroup_id_y 0
		.amdhsa_system_sgpr_workgroup_id_z 0
		.amdhsa_system_sgpr_workgroup_info 0
		.amdhsa_system_vgpr_workitem_id 0
		.amdhsa_next_free_vgpr 2
		.amdhsa_next_free_sgpr 6
		.amdhsa_reserve_vcc 0
		.amdhsa_float_round_mode_32 0
		.amdhsa_float_round_mode_16_64 0
		.amdhsa_float_denorm_mode_32 3
		.amdhsa_float_denorm_mode_16_64 3
		.amdhsa_dx10_clamp 1
		.amdhsa_ieee_mode 1
		.amdhsa_fp16_overflow 0
		.amdhsa_workgroup_processor_mode 1
		.amdhsa_memory_ordered 1
		.amdhsa_forward_progress 0
		.amdhsa_shared_vgpr_count 0
		.amdhsa_exception_fp_ieee_invalid_op 0
		.amdhsa_exception_fp_denorm_src 0
		.amdhsa_exception_fp_ieee_div_zero 0
		.amdhsa_exception_fp_ieee_overflow 0
		.amdhsa_exception_fp_ieee_underflow 0
		.amdhsa_exception_fp_ieee_inexact 0
		.amdhsa_exception_int_div_zero 0
	.end_amdhsa_kernel
	.text
.Lfunc_end3:
	.size	_Z10kernel_sumPfi, .Lfunc_end3-_Z10kernel_sumPfi
                                        ; -- End function
	.section	.AMDGPU.csdata,"",@progbits
; Kernel info:
; codeLenInByte = 140
; NumSgprs: 6
; NumVgprs: 2
; ScratchSize: 0
; MemoryBound: 0
; FloatMode: 240
; IeeeMode: 1
; LDSByteSize: 0 bytes/workgroup (compile time only)
; SGPRBlocks: 0
; VGPRBlocks: 0
; NumSGPRsForWavesPerEU: 6
; NumVGPRsForWavesPerEU: 2
; Occupancy: 16
; WaveLimiterHint : 0
; COMPUTE_PGM_RSRC2:SCRATCH_EN: 0
; COMPUTE_PGM_RSRC2:USER_SGPR: 15
; COMPUTE_PGM_RSRC2:TRAP_HANDLER: 0
; COMPUTE_PGM_RSRC2:TGID_X_EN: 1
; COMPUTE_PGM_RSRC2:TGID_Y_EN: 0
; COMPUTE_PGM_RSRC2:TGID_Z_EN: 0
; COMPUTE_PGM_RSRC2:TIDIG_COMP_CNT: 0
	.text
	.p2alignl 7, 3214868480
	.fill 96, 4, 3214868480
	.type	__hip_cuid_ca9f39648ff2fb2f,@object ; @__hip_cuid_ca9f39648ff2fb2f
	.section	.bss,"aw",@nobits
	.globl	__hip_cuid_ca9f39648ff2fb2f
__hip_cuid_ca9f39648ff2fb2f:
	.byte	0                               ; 0x0
	.size	__hip_cuid_ca9f39648ff2fb2f, 1

	.ident	"AMD clang version 19.0.0git (https://github.com/RadeonOpenCompute/llvm-project roc-6.4.0 25133 c7fe45cf4b819c5991fe208aaa96edf142730f1d)"
	.section	".note.GNU-stack","",@progbits
	.addrsig
	.addrsig_sym __hip_cuid_ca9f39648ff2fb2f
	.amdgpu_metadata
---
amdhsa.kernels:
  - .args:
      - .actual_access:  read_only
        .address_space:  global
        .offset:         0
        .size:           8
        .value_kind:     global_buffer
      - .actual_access:  read_only
        .address_space:  global
        .offset:         8
        .size:           8
        .value_kind:     global_buffer
      - .actual_access:  read_only
        .address_space:  global
        .offset:         16
        .size:           8
        .value_kind:     global_buffer
      - .actual_access:  read_only
        .address_space:  global
        .offset:         24
        .size:           8
        .value_kind:     global_buffer
      - .actual_access:  write_only
        .address_space:  global
        .offset:         32
        .size:           8
        .value_kind:     global_buffer
      - .actual_access:  write_only
        .address_space:  global
        .offset:         40
        .size:           8
        .value_kind:     global_buffer
      - .offset:         48
        .size:           4
        .value_kind:     by_value
      - .offset:         56
        .size:           4
        .value_kind:     hidden_block_count_x
      - .offset:         60
        .size:           4
        .value_kind:     hidden_block_count_y
      - .offset:         64
        .size:           4
        .value_kind:     hidden_block_count_z
      - .offset:         68
        .size:           2
        .value_kind:     hidden_group_size_x
      - .offset:         70
        .size:           2
        .value_kind:     hidden_group_size_y
      - .offset:         72
        .size:           2
        .value_kind:     hidden_group_size_z
      - .offset:         74
        .size:           2
        .value_kind:     hidden_remainder_x
      - .offset:         76
        .size:           2
        .value_kind:     hidden_remainder_y
      - .offset:         78
        .size:           2
        .value_kind:     hidden_remainder_z
      - .offset:         96
        .size:           8
        .value_kind:     hidden_global_offset_x
      - .offset:         104
        .size:           8
        .value_kind:     hidden_global_offset_y
      - .offset:         112
        .size:           8
        .value_kind:     hidden_global_offset_z
      - .offset:         120
        .size:           2
        .value_kind:     hidden_grid_dims
    .group_segment_fixed_size: 0
    .kernarg_segment_align: 8
    .kernarg_segment_size: 312
    .language:       OpenCL C
    .language_version:
      - 2
      - 0
    .max_flat_workgroup_size: 1024
    .name:           _Z17kernel_find_indexPKfS0_S0_S0_PfS1_i
    .private_segment_fixed_size: 0
    .sgpr_count:     18
    .sgpr_spill_count: 0
    .symbol:         _Z17kernel_find_indexPKfS0_S0_S0_PfS1_i.kd
    .uniform_work_group_size: 1
    .uses_dynamic_stack: false
    .vgpr_count:     6
    .vgpr_spill_count: 0
    .wavefront_size: 32
    .workgroup_processor_mode: 1
  - .args:
      - .address_space:  global
        .offset:         0
        .size:           8
        .value_kind:     global_buffer
      - .address_space:  global
        .offset:         8
        .size:           8
        .value_kind:     global_buffer
      - .actual_access:  read_only
        .address_space:  global
        .offset:         16
        .size:           8
        .value_kind:     global_buffer
      - .actual_access:  read_only
        .address_space:  global
        .offset:         24
        .size:           8
        .value_kind:     global_buffer
      - .address_space:  global
        .offset:         32
        .size:           8
        .value_kind:     global_buffer
      - .actual_access:  read_only
        .address_space:  global
        .offset:         40
        .size:           8
        .value_kind:     global_buffer
      - .actual_access:  write_only
        .address_space:  global
        .offset:         48
        .size:           8
        .value_kind:     global_buffer
      - .actual_access:  read_only
        .address_space:  global
        .offset:         56
        .size:           8
        .value_kind:     global_buffer
      - .address_space:  global
        .offset:         64
        .size:           8
        .value_kind:     global_buffer
      - .address_space:  global
        .offset:         72
        .size:           8
        .value_kind:     global_buffer
      - .actual_access:  write_only
        .address_space:  global
        .offset:         80
        .size:           8
        .value_kind:     global_buffer
      - .offset:         88
        .size:           4
        .value_kind:     by_value
      - .offset:         92
        .size:           4
        .value_kind:     by_value
      - .offset:         96
        .size:           4
        .value_kind:     by_value
      - .offset:         100
        .size:           4
        .value_kind:     by_value
      - .offset:         104
        .size:           4
        .value_kind:     by_value
      - .offset:         108
        .size:           4
        .value_kind:     by_value
      - .offset:         112
        .size:           4
        .value_kind:     hidden_block_count_x
      - .offset:         116
        .size:           4
        .value_kind:     hidden_block_count_y
      - .offset:         120
        .size:           4
        .value_kind:     hidden_block_count_z
      - .offset:         124
        .size:           2
        .value_kind:     hidden_group_size_x
      - .offset:         126
        .size:           2
        .value_kind:     hidden_group_size_y
      - .offset:         128
        .size:           2
        .value_kind:     hidden_group_size_z
      - .offset:         130
        .size:           2
        .value_kind:     hidden_remainder_x
      - .offset:         132
        .size:           2
        .value_kind:     hidden_remainder_y
      - .offset:         134
        .size:           2
        .value_kind:     hidden_remainder_z
      - .offset:         152
        .size:           8
        .value_kind:     hidden_global_offset_x
      - .offset:         160
        .size:           8
        .value_kind:     hidden_global_offset_y
      - .offset:         168
        .size:           8
        .value_kind:     hidden_global_offset_z
      - .offset:         176
        .size:           2
        .value_kind:     hidden_grid_dims
    .group_segment_fixed_size: 1024
    .kernarg_segment_align: 8
    .kernarg_segment_size: 368
    .language:       OpenCL C
    .language_version:
      - 2
      - 0
    .max_flat_workgroup_size: 1024
    .name:           _Z17kernel_likelihoodPfS_PKfS1_PiPKiS_PKhS_S2_S_iiiiii
    .private_segment_fixed_size: 0
    .sgpr_count:     38
    .sgpr_spill_count: 0
    .symbol:         _Z17kernel_likelihoodPfS_PKfS1_PiPKiS_PKhS_S2_S_iiiiii.kd
    .uniform_work_group_size: 1
    .uses_dynamic_stack: false
    .vgpr_count:     25
    .vgpr_spill_count: 0
    .wavefront_size: 32
    .workgroup_processor_mode: 1
  - .args:
      - .address_space:  global
        .offset:         0
        .size:           8
        .value_kind:     global_buffer
      - .actual_access:  read_only
        .address_space:  global
        .offset:         8
        .size:           8
        .value_kind:     global_buffer
      - .address_space:  global
        .offset:         16
        .size:           8
        .value_kind:     global_buffer
      - .address_space:  global
        .offset:         24
        .size:           8
        .value_kind:     global_buffer
      - .address_space:  global
        .offset:         32
        .size:           8
        .value_kind:     global_buffer
      - .offset:         40
        .size:           4
        .value_kind:     by_value
      - .offset:         48
        .size:           4
        .value_kind:     hidden_block_count_x
      - .offset:         52
        .size:           4
        .value_kind:     hidden_block_count_y
      - .offset:         56
        .size:           4
        .value_kind:     hidden_block_count_z
      - .offset:         60
        .size:           2
        .value_kind:     hidden_group_size_x
      - .offset:         62
        .size:           2
        .value_kind:     hidden_group_size_y
      - .offset:         64
        .size:           2
        .value_kind:     hidden_group_size_z
      - .offset:         66
        .size:           2
        .value_kind:     hidden_remainder_x
      - .offset:         68
        .size:           2
        .value_kind:     hidden_remainder_y
      - .offset:         70
        .size:           2
        .value_kind:     hidden_remainder_z
      - .offset:         88
        .size:           8
        .value_kind:     hidden_global_offset_x
      - .offset:         96
        .size:           8
        .value_kind:     hidden_global_offset_y
      - .offset:         104
        .size:           8
        .value_kind:     hidden_global_offset_z
      - .offset:         112
        .size:           2
        .value_kind:     hidden_grid_dims
    .group_segment_fixed_size: 8
    .kernarg_segment_align: 8
    .kernarg_segment_size: 304
    .language:       OpenCL C
    .language_version:
      - 2
      - 0
    .max_flat_workgroup_size: 1024
    .name:           _Z24kernel_normalize_weightsPfPKfS_S_Pii
    .private_segment_fixed_size: 0
    .sgpr_count:     21
    .sgpr_spill_count: 0
    .symbol:         _Z24kernel_normalize_weightsPfPKfS_S_Pii.kd
    .uniform_work_group_size: 1
    .uses_dynamic_stack: false
    .vgpr_count:     17
    .vgpr_spill_count: 0
    .wavefront_size: 32
    .workgroup_processor_mode: 1
  - .args:
      - .address_space:  global
        .offset:         0
        .size:           8
        .value_kind:     global_buffer
      - .offset:         8
        .size:           4
        .value_kind:     by_value
    .group_segment_fixed_size: 0
    .kernarg_segment_align: 8
    .kernarg_segment_size: 12
    .language:       OpenCL C
    .language_version:
      - 2
      - 0
    .max_flat_workgroup_size: 1024
    .name:           _Z10kernel_sumPfi
    .private_segment_fixed_size: 0
    .sgpr_count:     6
    .sgpr_spill_count: 0
    .symbol:         _Z10kernel_sumPfi.kd
    .uniform_work_group_size: 1
    .uses_dynamic_stack: false
    .vgpr_count:     2
    .vgpr_spill_count: 0
    .wavefront_size: 32
    .workgroup_processor_mode: 1
amdhsa.target:   amdgcn-amd-amdhsa--gfx1100
amdhsa.version:
  - 1
  - 2
...

	.end_amdgpu_metadata
